;; amdgpu-corpus repo=ROCm/rocFFT kind=compiled arch=gfx1201 opt=O3
	.text
	.amdgcn_target "amdgcn-amd-amdhsa--gfx1201"
	.amdhsa_code_object_version 6
	.protected	fft_rtc_fwd_len1092_factors_2_2_13_7_3_wgs_52_tpt_52_halfLds_sp_op_CI_CI_unitstride_sbrr_C2R_dirReg ; -- Begin function fft_rtc_fwd_len1092_factors_2_2_13_7_3_wgs_52_tpt_52_halfLds_sp_op_CI_CI_unitstride_sbrr_C2R_dirReg
	.globl	fft_rtc_fwd_len1092_factors_2_2_13_7_3_wgs_52_tpt_52_halfLds_sp_op_CI_CI_unitstride_sbrr_C2R_dirReg
	.p2align	8
	.type	fft_rtc_fwd_len1092_factors_2_2_13_7_3_wgs_52_tpt_52_halfLds_sp_op_CI_CI_unitstride_sbrr_C2R_dirReg,@function
fft_rtc_fwd_len1092_factors_2_2_13_7_3_wgs_52_tpt_52_halfLds_sp_op_CI_CI_unitstride_sbrr_C2R_dirReg: ; @fft_rtc_fwd_len1092_factors_2_2_13_7_3_wgs_52_tpt_52_halfLds_sp_op_CI_CI_unitstride_sbrr_C2R_dirReg
; %bb.0:
	s_clause 0x2
	s_load_b128 s[8:11], s[0:1], 0x0
	s_load_b128 s[4:7], s[0:1], 0x58
	;; [unrolled: 1-line block ×3, first 2 shown]
	v_mul_u32_u24_e32 v1, 0x4ed, v0
	v_mov_b32_e32 v3, 0
	s_delay_alu instid0(VALU_DEP_2) | instskip(NEXT) | instid1(VALU_DEP_1)
	v_lshrrev_b32_e32 v1, 16, v1
	v_add_nc_u32_e32 v5, ttmp9, v1
	v_mov_b32_e32 v1, 0
	v_mov_b32_e32 v2, 0
	;; [unrolled: 1-line block ×3, first 2 shown]
	s_wait_kmcnt 0x0
	v_cmp_lt_u64_e64 s2, s[10:11], 2
	s_delay_alu instid0(VALU_DEP_1)
	s_and_b32 vcc_lo, exec_lo, s2
	s_cbranch_vccnz .LBB0_8
; %bb.1:
	s_load_b64 s[2:3], s[0:1], 0x10
	v_mov_b32_e32 v1, 0
	v_mov_b32_e32 v2, 0
	s_add_nc_u64 s[16:17], s[14:15], 8
	s_add_nc_u64 s[18:19], s[12:13], 8
	s_mov_b64 s[20:21], 1
	s_delay_alu instid0(VALU_DEP_1)
	v_dual_mov_b32 v73, v2 :: v_dual_mov_b32 v72, v1
	s_wait_kmcnt 0x0
	s_add_nc_u64 s[22:23], s[2:3], 8
	s_mov_b32 s3, 0
.LBB0_2:                                ; =>This Inner Loop Header: Depth=1
	s_load_b64 s[24:25], s[22:23], 0x0
                                        ; implicit-def: $vgpr76_vgpr77
	s_mov_b32 s2, exec_lo
	s_wait_kmcnt 0x0
	v_or_b32_e32 v4, s25, v6
	s_delay_alu instid0(VALU_DEP_1)
	v_cmpx_ne_u64_e32 0, v[3:4]
	s_wait_alu 0xfffe
	s_xor_b32 s26, exec_lo, s2
	s_cbranch_execz .LBB0_4
; %bb.3:                                ;   in Loop: Header=BB0_2 Depth=1
	s_cvt_f32_u32 s2, s24
	s_cvt_f32_u32 s27, s25
	s_sub_nc_u64 s[30:31], 0, s[24:25]
	s_wait_alu 0xfffe
	s_delay_alu instid0(SALU_CYCLE_1) | instskip(SKIP_1) | instid1(SALU_CYCLE_2)
	s_fmamk_f32 s2, s27, 0x4f800000, s2
	s_wait_alu 0xfffe
	v_s_rcp_f32 s2, s2
	s_delay_alu instid0(TRANS32_DEP_1) | instskip(SKIP_1) | instid1(SALU_CYCLE_2)
	s_mul_f32 s2, s2, 0x5f7ffffc
	s_wait_alu 0xfffe
	s_mul_f32 s27, s2, 0x2f800000
	s_wait_alu 0xfffe
	s_delay_alu instid0(SALU_CYCLE_2) | instskip(SKIP_1) | instid1(SALU_CYCLE_2)
	s_trunc_f32 s27, s27
	s_wait_alu 0xfffe
	s_fmamk_f32 s2, s27, 0xcf800000, s2
	s_cvt_u32_f32 s29, s27
	s_wait_alu 0xfffe
	s_delay_alu instid0(SALU_CYCLE_1) | instskip(SKIP_1) | instid1(SALU_CYCLE_2)
	s_cvt_u32_f32 s28, s2
	s_wait_alu 0xfffe
	s_mul_u64 s[34:35], s[30:31], s[28:29]
	s_wait_alu 0xfffe
	s_mul_hi_u32 s37, s28, s35
	s_mul_i32 s36, s28, s35
	s_mul_hi_u32 s2, s28, s34
	s_mul_i32 s33, s29, s34
	s_wait_alu 0xfffe
	s_add_nc_u64 s[36:37], s[2:3], s[36:37]
	s_mul_hi_u32 s27, s29, s34
	s_mul_hi_u32 s38, s29, s35
	s_add_co_u32 s2, s36, s33
	s_wait_alu 0xfffe
	s_add_co_ci_u32 s2, s37, s27
	s_mul_i32 s34, s29, s35
	s_add_co_ci_u32 s35, s38, 0
	s_wait_alu 0xfffe
	s_add_nc_u64 s[34:35], s[2:3], s[34:35]
	s_wait_alu 0xfffe
	v_add_co_u32 v4, s2, s28, s34
	s_delay_alu instid0(VALU_DEP_1) | instskip(SKIP_1) | instid1(VALU_DEP_1)
	s_cmp_lg_u32 s2, 0
	s_add_co_ci_u32 s29, s29, s35
	v_readfirstlane_b32 s28, v4
	s_wait_alu 0xfffe
	s_delay_alu instid0(VALU_DEP_1)
	s_mul_u64 s[30:31], s[30:31], s[28:29]
	s_wait_alu 0xfffe
	s_mul_hi_u32 s35, s28, s31
	s_mul_i32 s34, s28, s31
	s_mul_hi_u32 s2, s28, s30
	s_mul_i32 s33, s29, s30
	s_wait_alu 0xfffe
	s_add_nc_u64 s[34:35], s[2:3], s[34:35]
	s_mul_hi_u32 s27, s29, s30
	s_mul_hi_u32 s28, s29, s31
	s_wait_alu 0xfffe
	s_add_co_u32 s2, s34, s33
	s_add_co_ci_u32 s2, s35, s27
	s_mul_i32 s30, s29, s31
	s_add_co_ci_u32 s31, s28, 0
	s_wait_alu 0xfffe
	s_add_nc_u64 s[30:31], s[2:3], s[30:31]
	s_wait_alu 0xfffe
	v_add_co_u32 v4, s2, v4, s30
	s_delay_alu instid0(VALU_DEP_1) | instskip(SKIP_1) | instid1(VALU_DEP_1)
	s_cmp_lg_u32 s2, 0
	s_add_co_ci_u32 s2, s29, s31
	v_mul_hi_u32 v13, v5, v4
	s_wait_alu 0xfffe
	v_mad_co_u64_u32 v[7:8], null, v5, s2, 0
	v_mad_co_u64_u32 v[9:10], null, v6, v4, 0
	;; [unrolled: 1-line block ×3, first 2 shown]
	s_delay_alu instid0(VALU_DEP_3) | instskip(SKIP_1) | instid1(VALU_DEP_4)
	v_add_co_u32 v4, vcc_lo, v13, v7
	s_wait_alu 0xfffd
	v_add_co_ci_u32_e32 v7, vcc_lo, 0, v8, vcc_lo
	s_delay_alu instid0(VALU_DEP_2) | instskip(SKIP_1) | instid1(VALU_DEP_2)
	v_add_co_u32 v4, vcc_lo, v4, v9
	s_wait_alu 0xfffd
	v_add_co_ci_u32_e32 v4, vcc_lo, v7, v10, vcc_lo
	s_wait_alu 0xfffd
	v_add_co_ci_u32_e32 v7, vcc_lo, 0, v12, vcc_lo
	s_delay_alu instid0(VALU_DEP_2) | instskip(SKIP_1) | instid1(VALU_DEP_2)
	v_add_co_u32 v4, vcc_lo, v4, v11
	s_wait_alu 0xfffd
	v_add_co_ci_u32_e32 v9, vcc_lo, 0, v7, vcc_lo
	s_delay_alu instid0(VALU_DEP_2) | instskip(SKIP_1) | instid1(VALU_DEP_3)
	v_mul_lo_u32 v10, s25, v4
	v_mad_co_u64_u32 v[7:8], null, s24, v4, 0
	v_mul_lo_u32 v11, s24, v9
	s_delay_alu instid0(VALU_DEP_2) | instskip(NEXT) | instid1(VALU_DEP_2)
	v_sub_co_u32 v7, vcc_lo, v5, v7
	v_add3_u32 v8, v8, v11, v10
	s_delay_alu instid0(VALU_DEP_1) | instskip(SKIP_1) | instid1(VALU_DEP_1)
	v_sub_nc_u32_e32 v10, v6, v8
	s_wait_alu 0xfffd
	v_subrev_co_ci_u32_e64 v10, s2, s25, v10, vcc_lo
	v_add_co_u32 v11, s2, v4, 2
	s_wait_alu 0xf1ff
	v_add_co_ci_u32_e64 v12, s2, 0, v9, s2
	v_sub_co_u32 v13, s2, v7, s24
	v_sub_co_ci_u32_e32 v8, vcc_lo, v6, v8, vcc_lo
	s_wait_alu 0xf1ff
	v_subrev_co_ci_u32_e64 v10, s2, 0, v10, s2
	s_delay_alu instid0(VALU_DEP_3) | instskip(NEXT) | instid1(VALU_DEP_3)
	v_cmp_le_u32_e32 vcc_lo, s24, v13
	v_cmp_eq_u32_e64 s2, s25, v8
	s_wait_alu 0xfffd
	v_cndmask_b32_e64 v13, 0, -1, vcc_lo
	v_cmp_le_u32_e32 vcc_lo, s25, v10
	s_wait_alu 0xfffd
	v_cndmask_b32_e64 v14, 0, -1, vcc_lo
	v_cmp_le_u32_e32 vcc_lo, s24, v7
	;; [unrolled: 3-line block ×3, first 2 shown]
	s_wait_alu 0xfffd
	v_cndmask_b32_e64 v15, 0, -1, vcc_lo
	v_cmp_eq_u32_e32 vcc_lo, s25, v10
	s_wait_alu 0xf1ff
	s_delay_alu instid0(VALU_DEP_2)
	v_cndmask_b32_e64 v7, v15, v7, s2
	s_wait_alu 0xfffd
	v_cndmask_b32_e32 v10, v14, v13, vcc_lo
	v_add_co_u32 v13, vcc_lo, v4, 1
	s_wait_alu 0xfffd
	v_add_co_ci_u32_e32 v14, vcc_lo, 0, v9, vcc_lo
	s_delay_alu instid0(VALU_DEP_3) | instskip(SKIP_1) | instid1(VALU_DEP_2)
	v_cmp_ne_u32_e32 vcc_lo, 0, v10
	s_wait_alu 0xfffd
	v_cndmask_b32_e32 v8, v14, v12, vcc_lo
	v_cndmask_b32_e32 v10, v13, v11, vcc_lo
	v_cmp_ne_u32_e32 vcc_lo, 0, v7
	s_wait_alu 0xfffd
	s_delay_alu instid0(VALU_DEP_2)
	v_dual_cndmask_b32 v77, v9, v8 :: v_dual_cndmask_b32 v76, v4, v10
.LBB0_4:                                ;   in Loop: Header=BB0_2 Depth=1
	s_wait_alu 0xfffe
	s_and_not1_saveexec_b32 s2, s26
	s_cbranch_execz .LBB0_6
; %bb.5:                                ;   in Loop: Header=BB0_2 Depth=1
	v_cvt_f32_u32_e32 v4, s24
	s_sub_co_i32 s26, 0, s24
	v_mov_b32_e32 v77, v3
	s_delay_alu instid0(VALU_DEP_2) | instskip(NEXT) | instid1(TRANS32_DEP_1)
	v_rcp_iflag_f32_e32 v4, v4
	v_mul_f32_e32 v4, 0x4f7ffffe, v4
	s_delay_alu instid0(VALU_DEP_1) | instskip(SKIP_1) | instid1(VALU_DEP_1)
	v_cvt_u32_f32_e32 v4, v4
	s_wait_alu 0xfffe
	v_mul_lo_u32 v7, s26, v4
	s_delay_alu instid0(VALU_DEP_1) | instskip(NEXT) | instid1(VALU_DEP_1)
	v_mul_hi_u32 v7, v4, v7
	v_add_nc_u32_e32 v4, v4, v7
	s_delay_alu instid0(VALU_DEP_1) | instskip(NEXT) | instid1(VALU_DEP_1)
	v_mul_hi_u32 v4, v5, v4
	v_mul_lo_u32 v7, v4, s24
	v_add_nc_u32_e32 v8, 1, v4
	s_delay_alu instid0(VALU_DEP_2) | instskip(NEXT) | instid1(VALU_DEP_1)
	v_sub_nc_u32_e32 v7, v5, v7
	v_subrev_nc_u32_e32 v9, s24, v7
	v_cmp_le_u32_e32 vcc_lo, s24, v7
	s_wait_alu 0xfffd
	s_delay_alu instid0(VALU_DEP_2) | instskip(NEXT) | instid1(VALU_DEP_1)
	v_dual_cndmask_b32 v7, v7, v9 :: v_dual_cndmask_b32 v4, v4, v8
	v_cmp_le_u32_e32 vcc_lo, s24, v7
	s_delay_alu instid0(VALU_DEP_2) | instskip(SKIP_1) | instid1(VALU_DEP_1)
	v_add_nc_u32_e32 v8, 1, v4
	s_wait_alu 0xfffd
	v_cndmask_b32_e32 v76, v4, v8, vcc_lo
.LBB0_6:                                ;   in Loop: Header=BB0_2 Depth=1
	s_wait_alu 0xfffe
	s_or_b32 exec_lo, exec_lo, s2
	v_mul_lo_u32 v4, v77, s24
	s_delay_alu instid0(VALU_DEP_2)
	v_mul_lo_u32 v9, v76, s25
	s_load_b64 s[26:27], s[18:19], 0x0
	v_mad_co_u64_u32 v[7:8], null, v76, s24, 0
	s_load_b64 s[24:25], s[16:17], 0x0
	s_add_nc_u64 s[20:21], s[20:21], 1
	s_add_nc_u64 s[16:17], s[16:17], 8
	s_wait_alu 0xfffe
	v_cmp_ge_u64_e64 s2, s[20:21], s[10:11]
	s_add_nc_u64 s[18:19], s[18:19], 8
	s_add_nc_u64 s[22:23], s[22:23], 8
	v_add3_u32 v4, v8, v9, v4
	v_sub_co_u32 v5, vcc_lo, v5, v7
	s_wait_alu 0xfffd
	s_delay_alu instid0(VALU_DEP_2) | instskip(SKIP_2) | instid1(VALU_DEP_1)
	v_sub_co_ci_u32_e32 v4, vcc_lo, v6, v4, vcc_lo
	s_and_b32 vcc_lo, exec_lo, s2
	s_wait_kmcnt 0x0
	v_mul_lo_u32 v6, s26, v4
	v_mul_lo_u32 v7, s27, v5
	v_mad_co_u64_u32 v[1:2], null, s26, v5, v[1:2]
	v_mul_lo_u32 v4, s24, v4
	v_mul_lo_u32 v8, s25, v5
	v_mad_co_u64_u32 v[72:73], null, s24, v5, v[72:73]
	s_delay_alu instid0(VALU_DEP_4) | instskip(NEXT) | instid1(VALU_DEP_2)
	v_add3_u32 v2, v7, v2, v6
	v_add3_u32 v73, v8, v73, v4
	s_wait_alu 0xfffe
	s_cbranch_vccnz .LBB0_9
; %bb.7:                                ;   in Loop: Header=BB0_2 Depth=1
	v_dual_mov_b32 v5, v76 :: v_dual_mov_b32 v6, v77
	s_branch .LBB0_2
.LBB0_8:
	v_dual_mov_b32 v73, v2 :: v_dual_mov_b32 v72, v1
	v_dual_mov_b32 v77, v6 :: v_dual_mov_b32 v76, v5
.LBB0_9:
	s_load_b64 s[0:1], s[0:1], 0x28
	v_mul_hi_u32 v3, 0x4ec4ec5, v0
	s_lshl_b64 s[10:11], s[10:11], 3
                                        ; implicit-def: $vgpr74
	s_wait_alu 0xfffe
	s_add_nc_u64 s[2:3], s[14:15], s[10:11]
	s_wait_kmcnt 0x0
	v_cmp_gt_u64_e32 vcc_lo, s[0:1], v[76:77]
	v_cmp_le_u64_e64 s0, s[0:1], v[76:77]
	s_delay_alu instid0(VALU_DEP_1)
	s_and_saveexec_b32 s1, s0
	s_wait_alu 0xfffe
	s_xor_b32 s0, exec_lo, s1
; %bb.10:
	v_mul_u32_u24_e32 v1, 52, v3
                                        ; implicit-def: $vgpr3
	s_delay_alu instid0(VALU_DEP_1)
	v_sub_nc_u32_e32 v74, v0, v1
                                        ; implicit-def: $vgpr0
                                        ; implicit-def: $vgpr1_vgpr2
; %bb.11:
	s_wait_alu 0xfffe
	s_or_saveexec_b32 s1, s0
	s_load_b64 s[2:3], s[2:3], 0x0
	s_xor_b32 exec_lo, exec_lo, s1
	s_cbranch_execz .LBB0_15
; %bb.12:
	s_add_nc_u64 s[10:11], s[12:13], s[10:11]
	v_lshlrev_b64_e32 v[1:2], 3, v[1:2]
	s_load_b64 s[10:11], s[10:11], 0x0
	s_wait_kmcnt 0x0
	v_mul_lo_u32 v6, s11, v76
	v_mul_lo_u32 v7, s10, v77
	v_mad_co_u64_u32 v[4:5], null, s10, v76, 0
	s_delay_alu instid0(VALU_DEP_1) | instskip(SKIP_1) | instid1(VALU_DEP_2)
	v_add3_u32 v5, v5, v7, v6
	v_mul_u32_u24_e32 v6, 52, v3
	v_lshlrev_b64_e32 v[3:4], 3, v[4:5]
	s_delay_alu instid0(VALU_DEP_2) | instskip(NEXT) | instid1(VALU_DEP_1)
	v_sub_nc_u32_e32 v74, v0, v6
	v_lshlrev_b32_e32 v44, 3, v74
	s_delay_alu instid0(VALU_DEP_3) | instskip(SKIP_1) | instid1(VALU_DEP_4)
	v_add_co_u32 v0, s0, s4, v3
	s_wait_alu 0xf1ff
	v_add_co_ci_u32_e64 v3, s0, s5, v4, s0
	s_mov_b32 s4, exec_lo
	s_delay_alu instid0(VALU_DEP_2) | instskip(SKIP_1) | instid1(VALU_DEP_2)
	v_add_co_u32 v0, s0, v0, v1
	s_wait_alu 0xf1ff
	v_add_co_ci_u32_e64 v1, s0, v3, v2, s0
	s_delay_alu instid0(VALU_DEP_2) | instskip(SKIP_1) | instid1(VALU_DEP_2)
	v_add_co_u32 v2, s0, v0, v44
	s_wait_alu 0xf1ff
	v_add_co_ci_u32_e64 v3, s0, 0, v1, s0
	s_clause 0x14
	global_load_b64 v[4:5], v[2:3], off
	global_load_b64 v[6:7], v[2:3], off offset:416
	global_load_b64 v[8:9], v[2:3], off offset:832
	;; [unrolled: 1-line block ×20, first 2 shown]
	v_add_nc_u32_e32 v44, 0, v44
	s_delay_alu instid0(VALU_DEP_1)
	v_add_nc_u32_e32 v45, 0x400, v44
	v_add_nc_u32_e32 v46, 0x800, v44
	;; [unrolled: 1-line block ×5, first 2 shown]
	s_wait_loadcnt 0x13
	ds_store_2addr_b64 v44, v[4:5], v[6:7] offset1:52
	s_wait_loadcnt 0x11
	ds_store_2addr_b64 v44, v[8:9], v[10:11] offset0:104 offset1:156
	s_wait_loadcnt 0xf
	ds_store_2addr_b64 v45, v[12:13], v[14:15] offset0:80 offset1:132
	s_wait_loadcnt 0xd
	ds_store_2addr_b64 v46, v[16:17], v[18:19] offset0:56 offset1:108
	s_wait_loadcnt 0xb
	ds_store_2addr_b64 v46, v[20:21], v[22:23] offset0:160 offset1:212
	s_wait_loadcnt 0x9
	ds_store_2addr_b64 v47, v[24:25], v[26:27] offset0:8 offset1:60
	s_wait_loadcnt 0x7
	ds_store_2addr_b64 v47, v[28:29], v[30:31] offset0:112 offset1:164
	s_wait_loadcnt 0x5
	ds_store_2addr_b64 v48, v[32:33], v[34:35] offset0:88 offset1:140
	s_wait_loadcnt 0x3
	ds_store_2addr_b64 v49, v[36:37], v[38:39] offset0:64 offset1:116
	s_wait_loadcnt 0x1
	ds_store_2addr_b64 v49, v[40:41], v[42:43] offset0:168 offset1:220
	s_wait_loadcnt 0x0
	ds_store_b64 v44, v[2:3] offset:8320
	v_cmpx_eq_u32_e32 51, v74
	s_cbranch_execz .LBB0_14
; %bb.13:
	global_load_b64 v[0:1], v[0:1], off offset:8736
	v_mov_b32_e32 v2, 0
	v_mov_b32_e32 v74, 51
	s_wait_loadcnt 0x0
	ds_store_b64 v2, v[0:1] offset:8736
.LBB0_14:
	s_wait_alu 0xfffe
	s_or_b32 exec_lo, exec_lo, s4
.LBB0_15:
	s_delay_alu instid0(SALU_CYCLE_1)
	s_or_b32 exec_lo, exec_lo, s1
	v_lshlrev_b32_e32 v0, 3, v74
	global_wb scope:SCOPE_SE
	s_wait_dscnt 0x0
	s_wait_kmcnt 0x0
	s_barrier_signal -1
	s_barrier_wait -1
	global_inv scope:SCOPE_SE
	v_add_nc_u32_e32 v95, 0, v0
	v_sub_nc_u32_e32 v4, 0, v0
	s_mov_b32 s1, exec_lo
                                        ; implicit-def: $vgpr0_vgpr1
	ds_load_b32 v5, v95
	ds_load_b32 v6, v4 offset:8736
	s_wait_dscnt 0x0
	v_dual_add_f32 v2, v6, v5 :: v_dual_sub_f32 v3, v5, v6
	v_cmpx_ne_u32_e32 0, v74
	s_wait_alu 0xfffe
	s_xor_b32 s1, exec_lo, s1
	s_cbranch_execz .LBB0_17
; %bb.16:
	v_dual_mov_b32 v75, 0 :: v_dual_sub_f32 v8, v5, v6
	s_delay_alu instid0(VALU_DEP_1) | instskip(NEXT) | instid1(VALU_DEP_1)
	v_lshlrev_b64_e32 v[0:1], 3, v[74:75]
	v_add_co_u32 v0, s0, s8, v0
	s_wait_alu 0xf1ff
	s_delay_alu instid0(VALU_DEP_2)
	v_add_co_ci_u32_e64 v1, s0, s9, v1, s0
	global_load_b64 v[0:1], v[0:1], off offset:8720
	ds_load_b32 v2, v4 offset:8740
	ds_load_b32 v3, v95 offset:4
	v_add_f32_e32 v7, v6, v5
	s_wait_dscnt 0x0
	v_dual_add_f32 v9, v2, v3 :: v_dual_sub_f32 v2, v3, v2
	s_wait_loadcnt 0x0
	s_delay_alu instid0(VALU_DEP_1) | instskip(SKIP_2) | instid1(VALU_DEP_3)
	v_fma_f32 v6, v9, v1, -v2
	v_fma_f32 v5, -v8, v1, v7
	v_fma_f32 v10, v8, v1, v7
	v_fmac_f32_e32 v6, v8, v0
	v_fma_f32 v3, v9, v1, v2
	s_delay_alu instid0(VALU_DEP_4) | instskip(NEXT) | instid1(VALU_DEP_4)
	v_fmac_f32_e32 v5, v0, v9
	v_fma_f32 v2, -v0, v9, v10
	s_delay_alu instid0(VALU_DEP_3)
	v_dual_fmac_f32 v3, v8, v0 :: v_dual_mov_b32 v0, v74
	v_mov_b32_e32 v1, v75
	ds_store_b64 v4, v[5:6] offset:8736
.LBB0_17:
	s_wait_alu 0xfffe
	s_and_not1_saveexec_b32 s0, s1
	s_cbranch_execz .LBB0_19
; %bb.18:
	v_mov_b32_e32 v7, 0
	ds_load_b64 v[0:1], v7 offset:4368
	s_wait_dscnt 0x0
	v_dual_mul_f32 v6, -2.0, v1 :: v_dual_add_f32 v5, v0, v0
	v_mov_b32_e32 v0, 0
	v_mov_b32_e32 v1, 0
	ds_store_b64 v7, v[5:6] offset:4368
.LBB0_19:
	s_wait_alu 0xfffe
	s_or_b32 exec_lo, exec_lo, s0
	v_lshlrev_b64_e32 v[0:1], 3, v[0:1]
	s_add_nc_u64 s[0:1], s[8:9], 0x2210
	s_wait_alu 0xfffe
	s_delay_alu instid0(VALU_DEP_1) | instskip(SKIP_1) | instid1(VALU_DEP_2)
	v_add_co_u32 v0, s0, s0, v0
	s_wait_alu 0xf1ff
	v_add_co_ci_u32_e64 v1, s0, s1, v1, s0
	v_cmp_gt_u32_e64 s0, 26, v74
	s_clause 0x6
	global_load_b64 v[5:6], v[0:1], off offset:416
	global_load_b64 v[7:8], v[0:1], off offset:832
	;; [unrolled: 1-line block ×7, first 2 shown]
	ds_store_b64 v95, v[2:3]
	ds_load_b64 v[2:3], v95 offset:416
	ds_load_b64 v[19:20], v4 offset:8320
	global_load_b64 v[21:22], v[0:1], off offset:3328
	s_wait_dscnt 0x0
	v_add_f32_e32 v23, v2, v19
	v_sub_f32_e32 v25, v2, v19
	v_add_f32_e32 v24, v20, v3
	v_sub_f32_e32 v2, v3, v20
	s_wait_loadcnt 0x7
	s_delay_alu instid0(VALU_DEP_1) | instskip(SKIP_2) | instid1(VALU_DEP_3)
	v_fma_f32 v3, v24, v6, v2
	v_fma_f32 v26, v25, v6, v23
	v_fma_f32 v19, -v25, v6, v23
	v_fmac_f32_e32 v3, v25, v5
	v_fma_f32 v20, v24, v6, -v2
	s_delay_alu instid0(VALU_DEP_4) | instskip(NEXT) | instid1(VALU_DEP_4)
	v_fma_f32 v2, -v5, v24, v26
	v_fmac_f32_e32 v19, v5, v24
	s_delay_alu instid0(VALU_DEP_3)
	v_fmac_f32_e32 v20, v25, v5
	ds_store_b64 v95, v[2:3] offset:416
	ds_store_b64 v4, v[19:20] offset:8320
	ds_load_b64 v[2:3], v95 offset:832
	ds_load_b64 v[5:6], v4 offset:7904
	global_load_b64 v[19:20], v[0:1], off offset:3744
	s_wait_dscnt 0x0
	v_add_f32_e32 v24, v6, v3
	v_sub_f32_e32 v25, v2, v5
	v_dual_add_f32 v23, v2, v5 :: v_dual_sub_f32 v2, v3, v6
	s_wait_loadcnt 0x7
	s_delay_alu instid0(VALU_DEP_1) | instskip(SKIP_1) | instid1(VALU_DEP_2)
	v_fma_f32 v6, v24, v8, -v2
	v_fma_f32 v3, v24, v8, v2
	v_fmac_f32_e32 v6, v25, v7
	v_fma_f32 v26, v25, v8, v23
	v_fma_f32 v5, -v25, v8, v23
	s_delay_alu instid0(VALU_DEP_4) | instskip(NEXT) | instid1(VALU_DEP_3)
	v_fmac_f32_e32 v3, v25, v7
	v_fma_f32 v2, -v7, v24, v26
	s_delay_alu instid0(VALU_DEP_3)
	v_fmac_f32_e32 v5, v7, v24
	ds_store_b64 v95, v[2:3] offset:832
	ds_store_b64 v4, v[5:6] offset:7904
	ds_load_b64 v[2:3], v95 offset:1248
	ds_load_b64 v[5:6], v4 offset:7488
	s_wait_dscnt 0x0
	v_add_f32_e32 v7, v2, v5
	v_sub_f32_e32 v23, v2, v5
	v_add_f32_e32 v8, v6, v3
	v_sub_f32_e32 v2, v3, v6
	s_wait_loadcnt 0x6
	s_delay_alu instid0(VALU_DEP_3) | instskip(SKIP_1) | instid1(VALU_DEP_3)
	v_fma_f32 v24, v23, v10, v7
	v_fma_f32 v5, -v23, v10, v7
	v_fma_f32 v3, v8, v10, v2
	s_delay_alu instid0(VALU_DEP_1) | instskip(SKIP_2) | instid1(VALU_DEP_2)
	v_fmac_f32_e32 v3, v23, v9
	v_fma_f32 v6, v8, v10, -v2
	v_fma_f32 v2, -v9, v8, v24
	v_dual_fmac_f32 v5, v9, v8 :: v_dual_fmac_f32 v6, v23, v9
	ds_store_b64 v95, v[2:3] offset:1248
	ds_store_b64 v4, v[5:6] offset:7488
	ds_load_b64 v[2:3], v95 offset:1664
	ds_load_b64 v[5:6], v4 offset:7072
	s_wait_dscnt 0x0
	v_add_f32_e32 v8, v6, v3
	v_add_f32_e32 v7, v2, v5
	v_dual_sub_f32 v9, v2, v5 :: v_dual_sub_f32 v2, v3, v6
	s_wait_loadcnt 0x5
	s_delay_alu instid0(VALU_DEP_1) | instskip(NEXT) | instid1(VALU_DEP_2)
	v_fma_f32 v10, v9, v12, v7
	v_fma_f32 v3, v8, v12, v2
	v_fma_f32 v5, -v9, v12, v7
	v_fma_f32 v6, v8, v12, -v2
	s_delay_alu instid0(VALU_DEP_4) | instskip(NEXT) | instid1(VALU_DEP_4)
	v_fma_f32 v2, -v11, v8, v10
	v_fmac_f32_e32 v3, v9, v11
	s_delay_alu instid0(VALU_DEP_3)
	v_dual_fmac_f32 v5, v11, v8 :: v_dual_fmac_f32 v6, v9, v11
	ds_store_b64 v95, v[2:3] offset:1664
	ds_store_b64 v4, v[5:6] offset:7072
	ds_load_b64 v[2:3], v95 offset:2080
	ds_load_b64 v[5:6], v4 offset:6656
	s_wait_dscnt 0x0
	v_add_f32_e32 v8, v6, v3
	v_add_f32_e32 v7, v2, v5
	v_dual_sub_f32 v9, v2, v5 :: v_dual_sub_f32 v2, v3, v6
	s_wait_loadcnt 0x4
	s_delay_alu instid0(VALU_DEP_1) | instskip(NEXT) | instid1(VALU_DEP_2)
	v_fma_f32 v10, v9, v14, v7
	v_fma_f32 v3, v8, v14, v2
	v_fma_f32 v5, -v9, v14, v7
	v_fma_f32 v6, v8, v14, -v2
	s_delay_alu instid0(VALU_DEP_4) | instskip(NEXT) | instid1(VALU_DEP_4)
	v_fma_f32 v2, -v13, v8, v10
	v_fmac_f32_e32 v3, v9, v13
	s_delay_alu instid0(VALU_DEP_4) | instskip(NEXT) | instid1(VALU_DEP_4)
	v_fmac_f32_e32 v5, v13, v8
	v_fmac_f32_e32 v6, v9, v13
	ds_store_b64 v95, v[2:3] offset:2080
	ds_store_b64 v4, v[5:6] offset:6656
	ds_load_b64 v[2:3], v95 offset:2496
	ds_load_b64 v[5:6], v4 offset:6240
	s_wait_dscnt 0x0
	v_add_f32_e32 v7, v2, v5
	v_add_f32_e32 v8, v6, v3
	v_dual_sub_f32 v9, v2, v5 :: v_dual_sub_f32 v2, v3, v6
	s_wait_loadcnt 0x3
	s_delay_alu instid0(VALU_DEP_1) | instskip(NEXT) | instid1(VALU_DEP_2)
	v_fma_f32 v10, v9, v16, v7
	v_fma_f32 v3, v8, v16, v2
	v_fma_f32 v5, -v9, v16, v7
	v_fma_f32 v6, v8, v16, -v2
	s_delay_alu instid0(VALU_DEP_4) | instskip(NEXT) | instid1(VALU_DEP_4)
	v_fma_f32 v2, -v15, v8, v10
	v_fmac_f32_e32 v3, v9, v15
	s_delay_alu instid0(VALU_DEP_3)
	v_dual_fmac_f32 v5, v15, v8 :: v_dual_fmac_f32 v6, v9, v15
	ds_store_b64 v95, v[2:3] offset:2496
	ds_store_b64 v4, v[5:6] offset:6240
	ds_load_b64 v[2:3], v95 offset:2912
	ds_load_b64 v[5:6], v4 offset:5824
	s_wait_dscnt 0x0
	v_add_f32_e32 v7, v2, v5
	v_sub_f32_e32 v9, v2, v5
	v_add_f32_e32 v8, v6, v3
	v_sub_f32_e32 v2, v3, v6
	s_wait_loadcnt 0x2
	s_delay_alu instid0(VALU_DEP_3) | instskip(SKIP_1) | instid1(VALU_DEP_3)
	v_fma_f32 v10, v9, v18, v7
	v_fma_f32 v5, -v9, v18, v7
	v_fma_f32 v3, v8, v18, v2
	s_delay_alu instid0(VALU_DEP_1) | instskip(SKIP_3) | instid1(VALU_DEP_3)
	v_fmac_f32_e32 v3, v9, v17
	v_fma_f32 v6, v8, v18, -v2
	v_fma_f32 v2, -v17, v8, v10
	v_fmac_f32_e32 v5, v17, v8
	v_fmac_f32_e32 v6, v9, v17
	ds_store_b64 v95, v[2:3] offset:2912
	ds_store_b64 v4, v[5:6] offset:5824
	ds_load_b64 v[2:3], v95 offset:3328
	ds_load_b64 v[5:6], v4 offset:5408
	s_wait_dscnt 0x0
	v_add_f32_e32 v7, v2, v5
	v_add_f32_e32 v8, v6, v3
	v_dual_sub_f32 v9, v2, v5 :: v_dual_sub_f32 v2, v3, v6
	s_wait_loadcnt 0x1
	s_delay_alu instid0(VALU_DEP_1) | instskip(NEXT) | instid1(VALU_DEP_2)
	v_fma_f32 v10, v9, v22, v7
	v_fma_f32 v3, v8, v22, v2
	v_fma_f32 v5, -v9, v22, v7
	v_fma_f32 v6, v8, v22, -v2
	s_delay_alu instid0(VALU_DEP_4) | instskip(NEXT) | instid1(VALU_DEP_4)
	v_fma_f32 v2, -v21, v8, v10
	v_fmac_f32_e32 v3, v9, v21
	s_delay_alu instid0(VALU_DEP_4) | instskip(NEXT) | instid1(VALU_DEP_4)
	v_fmac_f32_e32 v5, v21, v8
	v_fmac_f32_e32 v6, v9, v21
	ds_store_b64 v95, v[2:3] offset:3328
	ds_store_b64 v4, v[5:6] offset:5408
	ds_load_b64 v[2:3], v95 offset:3744
	ds_load_b64 v[5:6], v4 offset:4992
	s_wait_dscnt 0x0
	v_add_f32_e32 v8, v6, v3
	v_add_f32_e32 v7, v2, v5
	v_dual_sub_f32 v9, v2, v5 :: v_dual_sub_f32 v2, v3, v6
	s_wait_loadcnt 0x0
	s_delay_alu instid0(VALU_DEP_1) | instskip(NEXT) | instid1(VALU_DEP_2)
	v_fma_f32 v10, v9, v20, v7
	v_fma_f32 v3, v8, v20, v2
	v_fma_f32 v5, -v9, v20, v7
	v_fma_f32 v6, v8, v20, -v2
	s_delay_alu instid0(VALU_DEP_4) | instskip(NEXT) | instid1(VALU_DEP_4)
	v_fma_f32 v2, -v19, v8, v10
	v_fmac_f32_e32 v3, v9, v19
	s_delay_alu instid0(VALU_DEP_3)
	v_dual_fmac_f32 v5, v19, v8 :: v_dual_fmac_f32 v6, v9, v19
	ds_store_b64 v95, v[2:3] offset:3744
	ds_store_b64 v4, v[5:6] offset:4992
	s_and_saveexec_b32 s1, s0
	s_cbranch_execz .LBB0_21
; %bb.20:
	global_load_b64 v[0:1], v[0:1], off offset:4160
	ds_load_b64 v[2:3], v95 offset:4160
	ds_load_b64 v[5:6], v4 offset:4576
	s_wait_dscnt 0x0
	v_dual_add_f32 v8, v6, v3 :: v_dual_sub_f32 v3, v3, v6
	v_sub_f32_e32 v9, v2, v5
	v_add_f32_e32 v7, v2, v5
	s_wait_loadcnt 0x0
	s_delay_alu instid0(VALU_DEP_3) | instskip(SKIP_1) | instid1(VALU_DEP_2)
	v_fma_f32 v2, v8, v1, v3
	v_fma_f32 v6, v8, v1, -v3
	v_fmac_f32_e32 v2, v9, v0
	v_fma_f32 v10, v9, v1, v7
	v_fma_f32 v5, -v9, v1, v7
	s_delay_alu instid0(VALU_DEP_4) | instskip(NEXT) | instid1(VALU_DEP_3)
	v_fmac_f32_e32 v6, v9, v0
	v_fma_f32 v1, -v0, v8, v10
	s_delay_alu instid0(VALU_DEP_3)
	v_fmac_f32_e32 v5, v0, v8
	ds_store_b64 v95, v[1:2] offset:4160
	ds_store_b64 v4, v[5:6] offset:4576
.LBB0_21:
	s_wait_alu 0xfffe
	s_or_b32 exec_lo, exec_lo, s1
	v_add_nc_u32_e32 v0, 0x1000, v95
	global_wb scope:SCOPE_SE
	s_wait_dscnt 0x0
	s_barrier_signal -1
	s_barrier_wait -1
	global_inv scope:SCOPE_SE
	global_wb scope:SCOPE_SE
	s_barrier_signal -1
	s_barrier_wait -1
	global_inv scope:SCOPE_SE
	ds_load_2addr_b64 v[2:5], v95 offset1:52
	ds_load_2addr_b64 v[6:9], v0 offset0:8 offset1:34
	v_add_nc_u32_e32 v34, 0x800, v95
	s_wait_dscnt 0x0
	v_dual_sub_f32 v8, v2, v8 :: v_dual_add_nc_u32 v79, 52, v74
	v_sub_f32_e32 v9, v3, v9
	ds_load_2addr_b64 v[10:13], v0 offset0:86 offset1:138
	v_add_nc_u32_e32 v1, 0x400, v95
	ds_load_2addr_b64 v[14:17], v95 offset0:104 offset1:156
	ds_load_2addr_b64 v[18:21], v0 offset0:190 offset1:242
	v_add_nc_u32_e32 v38, 0x1800, v95
	v_add_nc_u32_e32 v35, 0x1c00, v95
	;; [unrolled: 1-line block ×6, first 2 shown]
	v_fma_f32 v2, v2, 2.0, -v8
	v_fma_f32 v3, v3, 2.0, -v9
	s_wait_dscnt 0x1
	v_dual_sub_f32 v10, v4, v10 :: v_dual_sub_f32 v13, v15, v13
	ds_load_2addr_b64 v[22:25], v1 offset0:80 offset1:132
	ds_load_2addr_b64 v[26:29], v38 offset0:38 offset1:90
	;; [unrolled: 1-line block ×3, first 2 shown]
	s_wait_dscnt 0x3
	v_dual_sub_f32 v18, v16, v18 :: v_dual_sub_f32 v19, v17, v19
	v_dual_sub_f32 v11, v5, v11 :: v_dual_sub_f32 v12, v14, v12
	v_add_nc_u32_e32 v45, 0x9c, v74
	v_add_nc_u32_e32 v47, 0x104, v74
	s_delay_alu instid0(VALU_DEP_4)
	v_fma_f32 v36, v17, 2.0, -v19
	v_add_nc_u32_e32 v44, 0x208, v74
	v_fma_f32 v4, v4, 2.0, -v10
	v_fma_f32 v5, v5, 2.0, -v11
	;; [unrolled: 1-line block ×4, first 2 shown]
	v_lshl_add_u32 v37, v75, 4, 0
	s_wait_dscnt 0x2
	v_sub_f32_e32 v21, v23, v21
	s_wait_dscnt 0x1
	v_sub_f32_e32 v27, v25, v27
	ds_load_2addr_b64 v[39:42], v38 offset0:142 offset1:194
	s_wait_dscnt 0x1
	v_sub_f32_e32 v29, v31, v29
	ds_load_2addr_b64 v[52:55], v34 offset0:160 offset1:212
	ds_load_2addr_b64 v[56:59], v35 offset0:118 offset1:170
	v_fma_f32 v35, v16, 2.0, -v18
	v_sub_f32_e32 v20, v22, v20
	v_sub_f32_e32 v26, v24, v26
	v_dual_sub_f32 v28, v30, v28 :: v_dual_add_nc_u32 v49, 0x16c, v74
	v_add_nc_u32_e32 v51, 0x1d4, v74
	s_delay_alu instid0(VALU_DEP_4)
	v_fma_f32 v22, v22, 2.0, -v20
	v_fma_f32 v23, v23, 2.0, -v21
	global_wb scope:SCOPE_SE
	s_wait_dscnt 0x0
	s_barrier_signal -1
	s_barrier_wait -1
	global_inv scope:SCOPE_SE
	v_fma_f32 v25, v25, 2.0, -v27
	v_fma_f32 v30, v30, 2.0, -v28
	;; [unrolled: 1-line block ×3, first 2 shown]
	v_sub_f32_e32 v39, v32, v39
	v_dual_sub_f32 v61, v53, v42 :: v_dual_sub_f32 v56, v54, v56
	v_dual_sub_f32 v16, v6, v58 :: v_dual_sub_f32 v17, v7, v59
	v_sub_f32_e32 v40, v33, v40
	v_sub_f32_e32 v60, v52, v41
	v_lshl_add_u32 v41, v45, 4, 0
	s_delay_alu instid0(VALU_DEP_4)
	v_fma_f32 v42, v6, 2.0, -v16
	v_lshl_add_u32 v6, v74, 4, 0
	v_fma_f32 v43, v7, 2.0, -v17
	v_lshl_add_u32 v7, v79, 4, 0
	v_sub_f32_e32 v57, v55, v57
	ds_store_2addr_b64 v6, v[2:3], v[8:9] offset1:1
	ds_store_2addr_b64 v7, v[4:5], v[10:11] offset1:1
	;; [unrolled: 1-line block ×4, first 2 shown]
	v_lshl_add_u32 v2, v46, 4, 0
	v_fma_f32 v24, v24, 2.0, -v26
	v_lshl_add_u32 v3, v47, 4, 0
	v_lshl_add_u32 v4, v48, 4, 0
	v_fma_f32 v32, v32, 2.0, -v39
	v_fma_f32 v33, v33, 2.0, -v40
	v_lshl_add_u32 v5, v49, 4, 0
	v_fma_f32 v52, v52, 2.0, -v60
	v_fma_f32 v53, v53, 2.0, -v61
	;; [unrolled: 3-line block ×3, first 2 shown]
	v_lshl_add_u32 v7, v51, 4, 0
	ds_store_2addr_b64 v2, v[22:23], v[20:21] offset1:1
	ds_store_2addr_b64 v3, v[24:25], v[26:27] offset1:1
	;; [unrolled: 1-line block ×6, first 2 shown]
	s_and_saveexec_b32 s1, s0
	s_cbranch_execz .LBB0_23
; %bb.22:
	v_lshl_add_u32 v2, v44, 4, 0
	ds_store_2addr_b64 v2, v[42:43], v[16:17] offset1:1
.LBB0_23:
	s_wait_alu 0xfffe
	s_or_b32 exec_lo, exec_lo, s1
	v_add_nc_u32_e32 v2, 0x1400, v95
	global_wb scope:SCOPE_SE
	s_wait_dscnt 0x0
	s_barrier_signal -1
	s_barrier_wait -1
	global_inv scope:SCOPE_SE
	ds_load_2addr_b64 v[18:21], v95 offset1:52
	ds_load_2addr_b64 v[12:15], v0 offset0:34 offset1:86
	ds_load_2addr_b64 v[30:33], v95 offset0:104 offset1:156
	;; [unrolled: 1-line block ×9, first 2 shown]
	v_lshlrev_b32_e32 v78, 1, v74
	v_lshlrev_b32_e32 v90, 1, v79
	v_lshlrev_b32_e32 v88, 1, v75
	v_lshlrev_b32_e32 v86, 1, v45
	v_lshlrev_b32_e32 v84, 1, v46
	v_lshlrev_b32_e32 v82, 1, v47
	v_lshlrev_b32_e32 v80, 1, v48
	v_lshlrev_b32_e32 v48, 1, v49
	v_lshlrev_b32_e32 v47, 1, v50
	v_lshlrev_b32_e32 v46, 1, v51
	s_and_saveexec_b32 s1, s0
	s_cbranch_execz .LBB0_25
; %bb.24:
	ds_load_b64 v[42:43], v95 offset:4160
	ds_load_b64 v[16:17], v95 offset:8528
.LBB0_25:
	s_wait_alu 0xfffe
	s_or_b32 exec_lo, exec_lo, s1
	v_and_b32_e32 v45, 1, v74
	s_delay_alu instid0(VALU_DEP_1)
	v_lshlrev_b32_e32 v49, 3, v45
	v_and_or_b32 v46, 0x7fc, v46, v45
	global_load_b64 v[49:50], v49, s[8:9]
	v_lshl_add_u32 v63, v46, 3, 0
	global_wb scope:SCOPE_SE
	s_wait_loadcnt_dscnt 0x0
	s_barrier_signal -1
	s_barrier_wait -1
	global_inv scope:SCOPE_SE
	v_mul_f32_e32 v46, v50, v13
	v_and_or_b32 v52, 0xfc, v90, v45
	v_and_or_b32 v53, 0x1fc, v88, v45
	;; [unrolled: 1-line block ×4, first 2 shown]
	v_mul_f32_e32 v69, v50, v2
	v_lshl_add_u32 v59, v52, 3, 0
	v_dual_mul_f32 v52, v50, v5 :: v_dual_mul_f32 v93, v16, v50
	v_mul_f32_e32 v81, v50, v11
	v_and_or_b32 v51, 0x7c, v78, v45
	v_lshl_add_u32 v60, v53, 3, 0
	v_lshl_add_u32 v61, v48, 3, 0
	;; [unrolled: 1-line block ×3, first 2 shown]
	v_dual_mul_f32 v47, v50, v12 :: v_dual_mul_f32 v92, v17, v50
	v_mul_f32_e32 v48, v50, v15
	v_mul_f32_e32 v53, v50, v4
	;; [unrolled: 1-line block ×3, first 2 shown]
	v_fma_f32 v4, v49, v4, -v52
	v_fmac_f32_e32 v69, v49, v3
	v_fma_f32 v3, v49, v10, -v81
	v_mul_f32_e32 v67, v50, v0
	v_lshl_add_u32 v58, v51, 3, 0
	v_dual_mul_f32 v64, v50, v7 :: v_dual_fmac_f32 v47, v49, v13
	v_mul_f32_e32 v83, v50, v10
	v_mul_f32_e32 v85, v50, v39
	;; [unrolled: 1-line block ×5, first 2 shown]
	v_fma_f32 v12, v49, v12, -v46
	v_fma_f32 v13, v49, v14, -v48
	v_mul_f32_e32 v51, v50, v14
	v_mul_f32_e32 v66, v50, v1
	v_fmac_f32_e32 v53, v49, v5
	v_fma_f32 v10, v16, v49, -v92
	v_dual_sub_f32 v16, v28, v3 :: v_dual_fmac_f32 v67, v49, v1
	v_sub_f32_e32 v14, v18, v12
	v_fma_f32 v1, v49, v2, -v68
	v_mul_f32_e32 v65, v50, v6
	v_mul_f32_e32 v70, v50, v9
	;; [unrolled: 1-line block ×3, first 2 shown]
	v_fma_f32 v5, v49, v6, -v64
	v_fma_f32 v6, v49, v38, -v85
	v_fmac_f32_e32 v87, v49, v39
	v_dual_fmac_f32 v91, v49, v41 :: v_dual_sub_f32 v12, v42, v10
	v_fmac_f32_e32 v93, v17, v49
	v_dual_sub_f32 v38, v20, v13 :: v_dual_fmac_f32 v51, v49, v15
	v_fma_f32 v0, v49, v0, -v66
	v_dual_sub_f32 v50, v24, v1 :: v_dual_fmac_f32 v65, v49, v7
	v_fma_f32 v2, v49, v8, -v70
	v_fmac_f32_e32 v83, v49, v11
	v_fma_f32 v7, v49, v40, -v89
	v_dual_fmac_f32 v71, v49, v9 :: v_dual_sub_f32 v48, v22, v0
	v_dual_sub_f32 v15, v19, v47 :: v_dual_sub_f32 v40, v30, v4
	v_sub_f32_e32 v46, v32, v5
	v_dual_sub_f32 v0, v26, v2 :: v_dual_sub_f32 v17, v29, v83
	v_dual_sub_f32 v8, v34, v6 :: v_dual_sub_f32 v9, v35, v87
	v_sub_f32_e32 v4, v36, v7
	v_sub_f32_e32 v5, v37, v91
	;; [unrolled: 1-line block ×5, first 2 shown]
	v_and_or_b32 v54, 0x1fc, v86, v45
	v_sub_f32_e32 v47, v33, v65
	v_and_or_b32 v55, 0x3fc, v84, v45
	v_sub_f32_e32 v49, v23, v67
	v_and_or_b32 v56, 0x2fc, v82, v45
	v_and_or_b32 v57, 0x2fc, v80, v45
	v_sub_f32_e32 v51, v25, v69
	v_sub_f32_e32 v1, v27, v71
	v_fma_f32 v52, v18, 2.0, -v14
	v_fma_f32 v53, v19, 2.0, -v15
	;; [unrolled: 1-line block ×14, first 2 shown]
	v_lshl_add_u32 v54, v54, 3, 0
	v_fma_f32 v32, v32, 2.0, -v46
	v_fma_f32 v33, v33, 2.0, -v47
	v_lshl_add_u32 v55, v55, 3, 0
	v_fma_f32 v22, v22, 2.0, -v48
	v_fma_f32 v23, v23, 2.0, -v49
	v_lshl_add_u32 v56, v56, 3, 0
	v_lshl_add_u32 v57, v57, 3, 0
	v_fma_f32 v24, v24, 2.0, -v50
	v_fma_f32 v25, v25, 2.0, -v51
	v_fma_f32 v26, v26, 2.0, -v0
	v_fma_f32 v27, v27, 2.0, -v1
	ds_store_2addr_b64 v58, v[52:53], v[14:15] offset1:2
	ds_store_2addr_b64 v59, v[20:21], v[38:39] offset1:2
	;; [unrolled: 1-line block ×10, first 2 shown]
	s_and_saveexec_b32 s1, s0
	s_cbranch_execz .LBB0_27
; %bb.26:
	v_lshlrev_b32_e32 v14, 1, v44
	s_delay_alu instid0(VALU_DEP_1) | instskip(NEXT) | instid1(VALU_DEP_1)
	v_and_or_b32 v14, 0x47c, v14, v45
	v_lshl_add_u32 v14, v14, 3, 0
	ds_store_2addr_b64 v14, v[6:7], v[12:13] offset1:2
.LBB0_27:
	s_wait_alu 0xfffe
	s_or_b32 exec_lo, exec_lo, s1
	v_add_nc_u32_e32 v14, 0x800, v95
	v_add_nc_u32_e32 v21, 0xc00, v95
	;; [unrolled: 1-line block ×4, first 2 shown]
	global_wb scope:SCOPE_SE
	s_wait_dscnt 0x0
	s_barrier_signal -1
	s_barrier_wait -1
	global_inv scope:SCOPE_SE
	ds_load_2addr_b64 v[48:51], v95 offset1:84
	ds_load_2addr_b64 v[68:71], v95 offset0:168 offset1:252
	ds_load_2addr_b64 v[64:67], v14 offset0:80 offset1:164
	;; [unrolled: 1-line block ×5, first 2 shown]
	ds_load_b64 v[93:94], v95 offset:8064
	v_cmp_gt_u32_e64 s0, 32, v74
                                        ; implicit-def: $vgpr92
                                        ; implicit-def: $vgpr31
	s_delay_alu instid0(VALU_DEP_1)
	s_and_saveexec_b32 s1, s0
	s_cbranch_execz .LBB0_29
; %bb.28:
	v_add_nc_u32_e32 v12, 0x400, v95
	v_add_nc_u32_e32 v13, 0x1400, v95
	ds_load_2addr_b64 v[0:3], v95 offset0:52 offset1:136
	ds_load_2addr_b64 v[8:11], v14 offset0:132 offset1:216
	;; [unrolled: 1-line block ×6, first 2 shown]
	ds_load_b64 v[91:92], v95 offset:8480
.LBB0_29:
	s_wait_alu 0xfffe
	s_or_b32 exec_lo, exec_lo, s1
	v_and_b32_e32 v81, 3, v74
	s_delay_alu instid0(VALU_DEP_1) | instskip(NEXT) | instid1(VALU_DEP_1)
	v_mul_u32_u24_e32 v20, 12, v81
	v_lshlrev_b32_e32 v44, 3, v20
	s_clause 0x5
	global_load_b128 v[36:39], v44, s[8:9] offset:16
	global_load_b128 v[32:35], v44, s[8:9] offset:32
	;; [unrolled: 1-line block ×6, first 2 shown]
	global_wb scope:SCOPE_SE
	s_wait_loadcnt_dscnt 0x0
	s_barrier_signal -1
	s_barrier_wait -1
	global_inv scope:SCOPE_SE
	v_mul_f32_e32 v103, v37, v51
	v_dual_mul_f32 v104, v37, v50 :: v_dual_mul_f32 v105, v39, v69
	v_mul_f32_e32 v102, v39, v68
	v_dual_mul_f32 v106, v33, v71 :: v_dual_mul_f32 v107, v35, v65
	v_dual_mul_f32 v101, v33, v70 :: v_dual_mul_f32 v100, v35, v64
	;; [unrolled: 1-line block ×3, first 2 shown]
	v_dual_mul_f32 v111, v23, v57 :: v_dual_fmac_f32 v104, v36, v51
	v_dual_mul_f32 v113, v53, v43 :: v_dual_mul_f32 v114, v55, v45
	v_dual_mul_f32 v89, v52, v43 :: v_dual_mul_f32 v96, v54, v45
	v_mul_f32_e32 v115, v94, v47
	v_dual_mul_f32 v97, v93, v47 :: v_dual_fmac_f32 v102, v38, v69
	v_dual_mul_f32 v99, v25, v66 :: v_dual_mul_f32 v98, v23, v56
	v_dual_mul_f32 v83, v27, v60 :: v_dual_mul_f32 v110, v21, v63
	;; [unrolled: 1-line block ×3, first 2 shown]
	v_dual_mul_f32 v87, v58, v41 :: v_dual_fmac_f32 v96, v55, v44
	v_fma_f32 v116, v36, v50, -v103
	v_fma_f32 v103, v38, v68, -v105
	v_fma_f32 v69, v32, v70, -v106
	v_dual_fmac_f32 v101, v32, v71 :: v_dual_fmac_f32 v100, v34, v65
	v_fma_f32 v65, v24, v66, -v108
	v_fma_f32 v52, v52, v42, -v113
	v_fma_f32 v51, v54, v44, -v114
	v_dual_fmac_f32 v97, v94, v46 :: v_dual_add_f32 v66, v104, v49
	v_fma_f32 v50, v93, v46, -v115
	s_delay_alu instid0(VALU_DEP_4)
	v_dual_sub_f32 v106, v69, v52 :: v_dual_fmac_f32 v99, v24, v67
	v_fmac_f32_e32 v98, v22, v57
	v_dual_fmac_f32 v83, v26, v61 :: v_dual_sub_f32 v94, v103, v51
	v_fmac_f32_e32 v85, v20, v63
	v_dual_fmac_f32 v87, v59, v40 :: v_dual_add_f32 v54, v104, v97
	v_dual_fmac_f32 v89, v53, v42 :: v_dual_sub_f32 v70, v104, v97
	v_add_f32_e32 v63, v116, v48
	v_dual_sub_f32 v104, v102, v96 :: v_dual_sub_f32 v67, v116, v50
	v_fma_f32 v68, v34, v64, -v107
	v_fma_f32 v64, v26, v60, -v109
	;; [unrolled: 1-line block ×3, first 2 shown]
	v_sub_f32_e32 v62, v83, v85
	v_fma_f32 v60, v22, v56, -v111
	v_fma_f32 v56, v58, v40, -v112
	v_add_f32_e32 v53, v116, v50
	v_add_f32_e32 v57, v103, v51
	v_dual_add_f32 v55, v102, v96 :: v_dual_add_f32 v110, v100, v87
	v_dual_sub_f32 v105, v101, v89 :: v_dual_add_f32 v66, v66, v102
	v_dual_add_f32 v93, v101, v89 :: v_dual_mul_f32 v102, 0xbeedf032, v70
	v_add_f32_e32 v112, v99, v98
	v_dual_add_f32 v63, v63, v103 :: v_dual_mul_f32 v124, 0xbf52af12, v94
	s_delay_alu instid0(VALU_DEP_4)
	v_dual_mul_f32 v103, 0xbeedf032, v67 :: v_dual_add_f32 v66, v66, v101
	v_sub_f32_e32 v107, v100, v87
	v_dual_sub_f32 v109, v68, v56 :: v_dual_mul_f32 v116, 0xbf52af12, v67
	v_dual_sub_f32 v59, v64, v61 :: v_dual_mul_f32 v118, 0xbf7e222b, v67
	v_dual_add_f32 v111, v65, v60 :: v_dual_mul_f32 v120, 0xbf6f5d39, v67
	v_dual_sub_f32 v113, v99, v98 :: v_dual_mul_f32 v122, 0xbf29c268, v67
	v_dual_sub_f32 v114, v65, v60 :: v_dual_mul_f32 v117, 0xbf7e222b, v70
	v_dual_mul_f32 v119, 0xbf6f5d39, v70 :: v_dual_mul_f32 v148, 0xbf6f5d39, v109
	v_dual_mul_f32 v67, 0xbe750f2a, v67 :: v_dual_mul_f32 v128, 0xbe750f2a, v94
	v_fma_f32 v164, 0x3f62ad3f, v53, -v102
	v_mul_f32_e32 v115, 0xbf52af12, v70
	v_dual_fmamk_f32 v165, v54, 0x3f62ad3f, v103 :: v_dual_fmac_f32 v102, 0x3f62ad3f, v53
	v_mul_f32_e32 v121, 0xbf29c268, v70
	v_mul_f32_e32 v70, 0xbe750f2a, v70
	v_dual_mul_f32 v123, 0xbf52af12, v104 :: v_dual_mul_f32 v142, 0xbf52af12, v106
	v_dual_mul_f32 v125, 0xbf6f5d39, v104 :: v_dual_mul_f32 v126, 0xbf6f5d39, v94
	v_dual_mul_f32 v127, 0xbe750f2a, v104 :: v_dual_mul_f32 v134, 0xbe750f2a, v105
	v_dual_mul_f32 v129, 0x3f29c268, v104 :: v_dual_mul_f32 v130, 0x3f29c268, v94
	v_dual_mul_f32 v131, 0x3f7e222b, v104 :: v_dual_mul_f32 v132, 0x3f7e222b, v94
	v_dual_mul_f32 v104, 0x3eedf032, v104 :: v_dual_mul_f32 v141, 0x3eedf032, v106
	v_dual_mul_f32 v133, 0xbf7e222b, v105 :: v_dual_mul_f32 v138, 0xbf7e222b, v106
	v_dual_mul_f32 v135, 0x3f6f5d39, v105 :: v_dual_mul_f32 v140, 0x3f6f5d39, v106
	v_dual_mul_f32 v137, 0xbf52af12, v105 :: v_dual_mul_f32 v158, 0xbf52af12, v114
	v_fma_f32 v103, 0x3f62ad3f, v54, -v103
	v_fma_f32 v174, 0xbf788fa5, v53, -v70
	v_dual_fmamk_f32 v175, v54, 0xbf788fa5, v67 :: v_dual_fmac_f32 v70, 0xbf788fa5, v53
	v_add_f32_e32 v164, v164, v48
	v_fma_f32 v166, 0x3f116cb1, v53, -v115
	v_mul_f32_e32 v139, 0xbe750f2a, v106
	v_mul_f32_e32 v106, 0xbf29c268, v106
	v_fmac_f32_e32 v115, 0x3f116cb1, v53
	v_mul_f32_e32 v136, 0x3eedf032, v105
	v_dual_mul_f32 v105, 0xbf29c268, v105 :: v_dual_add_f32 v108, v68, v56
	v_dual_mul_f32 v144, 0x3f29c268, v107 :: v_dual_mul_f32 v149, 0x3f29c268, v109
	v_mul_f32_e32 v146, 0xbf7e222b, v107
	v_fma_f32 v170, 0xbeb58ec6, v53, -v119
	v_dual_fmac_f32 v119, 0xbeb58ec6, v53 :: v_dual_fmamk_f32 v180, v55, 0xbeb58ec6, v126
	v_fma_f32 v177, 0xbf3f9e67, v57, -v129
	v_dual_fmac_f32 v129, 0xbf3f9e67, v57 :: v_dual_fmamk_f32 v192, v93, 0xbf3f9e67, v106
	v_add_f32_e32 v103, v103, v49
	v_fmamk_f32 v171, v54, 0xbeb58ec6, v120
	v_fma_f32 v120, 0xbeb58ec6, v54, -v120
	v_fmamk_f32 v167, v54, 0x3f116cb1, v116
	v_dual_add_f32 v71, v69, v52 :: v_dual_add_f32 v58, v64, v61
	v_dual_mul_f32 v94, 0x3eedf032, v94 :: v_dual_mul_f32 v145, 0x3eedf032, v107
	v_mul_f32_e32 v143, 0xbf6f5d39, v107
	v_dual_mul_f32 v147, 0x3e750f2a, v107 :: v_dual_mul_f32 v152, 0x3e750f2a, v109
	v_dual_mul_f32 v153, 0xbf29c268, v113 :: v_dual_mul_f32 v154, 0xbf29c268, v114
	v_fma_f32 v116, 0x3f116cb1, v54, -v116
	v_mul_f32_e32 v107, 0x3f52af12, v107
	v_fma_f32 v168, 0x3df6dbef, v53, -v117
	v_fmac_f32_e32 v117, 0x3df6dbef, v53
	v_fma_f32 v195, 0x3df6dbef, v108, -v146
	v_fmac_f32_e32 v146, 0x3df6dbef, v108
	v_mul_f32_e32 v150, 0x3eedf032, v109
	v_dual_fmamk_f32 v198, v110, 0xbf3f9e67, v149 :: v_dual_fmamk_f32 v203, v112, 0xbf3f9e67, v154
	v_fma_f32 v149, 0xbf3f9e67, v110, -v149
	v_add_f32_e32 v102, v102, v48
	v_fmamk_f32 v169, v54, 0x3df6dbef, v118
	v_fma_f32 v118, 0x3df6dbef, v54, -v118
	v_fma_f32 v172, 0xbf3f9e67, v53, -v121
	v_dual_fmac_f32 v121, 0xbf3f9e67, v53 :: v_dual_fmamk_f32 v182, v55, 0xbf3f9e67, v130
	v_fma_f32 v53, 0xbf788fa5, v54, -v67
	v_fma_f32 v67, 0xbeb58ec6, v57, -v125
	v_add_f32_e32 v166, v166, v48
	v_dual_add_f32 v119, v119, v48 :: v_dual_add_f32 v120, v120, v49
	v_add_f32_e32 v167, v167, v49
	v_fmamk_f32 v173, v54, 0xbf3f9e67, v122
	v_fma_f32 v122, 0xbf3f9e67, v54, -v122
	v_dual_mul_f32 v151, 0xbf7e222b, v109 :: v_dual_add_f32 v168, v168, v48
	v_dual_mul_f32 v109, 0x3f52af12, v109 :: v_dual_add_f32 v170, v170, v48
	v_dual_mul_f32 v155, 0x3f7e222b, v113 :: v_dual_mul_f32 v156, 0x3f7e222b, v114
	v_dual_mul_f32 v157, 0xbf52af12, v113 :: v_dual_add_f32 v172, v172, v48
	v_dual_mul_f32 v159, 0x3e750f2a, v113 :: v_dual_mul_f32 v160, 0x3e750f2a, v114
	v_dual_mul_f32 v161, 0x3eedf032, v113 :: v_dual_mul_f32 v162, 0x3eedf032, v114
	v_dual_mul_f32 v113, 0xbf6f5d39, v113 :: v_dual_add_f32 v174, v174, v48
	v_dual_mul_f32 v163, 0xbe750f2a, v62 :: v_dual_add_f32 v118, v118, v49
	v_fma_f32 v54, 0x3f116cb1, v57, -v123
	v_fmac_f32_e32 v123, 0x3f116cb1, v57
	v_fmac_f32_e32 v125, 0xbeb58ec6, v57
	v_fma_f32 v176, 0xbf788fa5, v57, -v127
	v_fmac_f32_e32 v127, 0xbf788fa5, v57
	v_fma_f32 v178, 0x3df6dbef, v57, -v131
	v_fma_f32 v179, 0x3f62ad3f, v57, -v104
	v_fmac_f32_e32 v104, 0x3f62ad3f, v57
	v_fma_f32 v126, 0xbeb58ec6, v55, -v126
	v_dual_fmamk_f32 v181, v55, 0xbf788fa5, v128 :: v_dual_add_f32 v122, v122, v49
	v_fma_f32 v128, 0xbf788fa5, v55, -v128
	v_fma_f32 v130, 0xbf3f9e67, v55, -v130
	v_dual_fmamk_f32 v183, v55, 0x3df6dbef, v132 :: v_dual_fmamk_f32 v200, v110, 0x3df6dbef, v151
	v_fma_f32 v132, 0x3df6dbef, v55, -v132
	v_fmamk_f32 v184, v55, 0x3f62ad3f, v94
	v_fma_f32 v185, 0xbf788fa5, v71, -v134
	v_add_f32_e32 v63, v63, v69
	v_fma_f32 v196, 0xbf788fa5, v108, -v147
	v_add_f32_e32 v115, v115, v48
	v_fmac_f32_e32 v131, 0x3df6dbef, v57
	v_dual_fmamk_f32 v57, v55, 0x3f116cb1, v124 :: v_dual_fmamk_f32 v202, v110, 0x3f116cb1, v109
	v_fma_f32 v124, 0x3f116cb1, v55, -v124
	v_fma_f32 v55, 0x3f62ad3f, v55, -v94
	;; [unrolled: 1-line block ×3, first 2 shown]
	v_fmac_f32_e32 v136, 0x3f62ad3f, v71
	v_add_f32_e32 v116, v116, v49
	v_fma_f32 v197, 0x3f116cb1, v108, -v107
	v_add_f32_e32 v117, v117, v48
	v_dual_fmamk_f32 v190, v93, 0x3f62ad3f, v141 :: v_dual_fmamk_f32 v199, v110, 0x3f62ad3f, v150
	v_add_f32_e32 v169, v169, v49
	v_add_f32_e32 v171, v171, v49
	;; [unrolled: 1-line block ×3, first 2 shown]
	v_dual_add_f32 v175, v175, v49 :: v_dual_add_f32 v48, v70, v48
	v_add_f32_e32 v67, v67, v166
	v_dual_fmac_f32 v147, 0xbf788fa5, v108 :: v_dual_add_f32 v70, v180, v167
	v_add_f32_e32 v173, v173, v49
	v_add_f32_e32 v119, v129, v119
	;; [unrolled: 1-line block ×4, first 2 shown]
	v_fma_f32 v94, 0x3df6dbef, v71, -v133
	v_fmac_f32_e32 v133, 0x3df6dbef, v71
	v_fmac_f32_e32 v134, 0xbf788fa5, v71
	v_fma_f32 v186, 0xbeb58ec6, v71, -v135
	v_fmac_f32_e32 v135, 0xbeb58ec6, v71
	v_fma_f32 v188, 0x3f116cb1, v71, -v137
	;; [unrolled: 2-line block ×3, first 2 shown]
	v_fmac_f32_e32 v105, 0xbf3f9e67, v71
	v_dual_fmamk_f32 v69, v93, 0x3df6dbef, v138 :: v_dual_add_f32 v120, v130, v120
	v_fma_f32 v71, 0x3df6dbef, v93, -v138
	v_fmamk_f32 v101, v93, 0xbf788fa5, v139
	v_fma_f32 v138, 0xbf788fa5, v93, -v139
	v_dual_fmamk_f32 v139, v93, 0xbeb58ec6, v140 :: v_dual_add_f32 v122, v132, v122
	v_fma_f32 v140, 0xbeb58ec6, v93, -v140
	v_fma_f32 v141, 0x3f62ad3f, v93, -v141
	v_fmamk_f32 v191, v93, 0x3f116cb1, v142
	v_fma_f32 v142, 0x3f116cb1, v93, -v142
	v_fma_f32 v93, 0xbf3f9e67, v93, -v106
	v_dual_add_f32 v54, v54, v164 :: v_dual_add_f32 v49, v55, v49
	v_mul_f32_e32 v114, 0xbf6f5d39, v114
	v_fma_f32 v106, 0xbeb58ec6, v108, -v143
	s_delay_alu instid0(VALU_DEP_3)
	v_dual_fmac_f32 v143, 0xbeb58ec6, v108 :: v_dual_add_f32 v54, v94, v54
	v_fma_f32 v109, 0x3f116cb1, v110, -v109
	v_add_f32_e32 v49, v93, v49
	v_add_f32_e32 v53, v63, v68
	v_fma_f32 v204, 0x3df6dbef, v111, -v155
	v_fma_f32 v210, 0x3f62ad3f, v111, -v161
	v_dual_fmamk_f32 v211, v112, 0x3f62ad3f, v162 :: v_dual_add_f32 v54, v106, v54
	v_fmac_f32_e32 v161, 0x3f62ad3f, v111
	v_fma_f32 v162, 0x3f62ad3f, v112, -v162
	v_dual_add_f32 v63, v66, v100 :: v_dual_add_f32 v66, v123, v102
	v_add_f32_e32 v102, v126, v116
	v_dual_add_f32 v116, v127, v117 :: v_dual_add_f32 v127, v184, v175
	v_add_f32_e32 v53, v53, v65
	v_fma_f32 v193, 0xbf3f9e67, v108, -v144
	v_fmac_f32_e32 v144, 0xbf3f9e67, v108
	v_fma_f32 v194, 0x3f62ad3f, v108, -v145
	v_fmac_f32_e32 v145, 0x3f62ad3f, v108
	v_dual_add_f32 v53, v53, v64 :: v_dual_add_f32 v64, v192, v127
	v_dual_add_f32 v68, v124, v103 :: v_dual_fmamk_f32 v201, v110, 0xbf788fa5, v152
	v_add_f32_e32 v48, v104, v48
	v_fma_f32 v206, 0x3f116cb1, v111, -v157
	v_add_f32_e32 v103, v176, v168
	v_fmac_f32_e32 v107, 0x3f116cb1, v108
	v_fmamk_f32 v108, v110, 0xbeb58ec6, v148
	v_fma_f32 v148, 0xbeb58ec6, v110, -v148
	v_add_f32_e32 v55, v63, v99
	v_add_f32_e32 v63, v133, v66
	v_dual_add_f32 v65, v71, v68 :: v_dual_add_f32 v66, v185, v67
	v_fma_f32 v208, 0xbf788fa5, v111, -v159
	v_dual_fmac_f32 v159, 0xbf788fa5, v111 :: v_dual_add_f32 v48, v105, v48
	v_dual_add_f32 v57, v57, v165 :: v_dual_add_f32 v64, v202, v64
	v_add_f32_e32 v100, v125, v115
	v_add_f32_e32 v115, v181, v169
	;; [unrolled: 1-line block ×6, first 2 shown]
	v_fma_f32 v150, 0x3f62ad3f, v110, -v150
	v_fma_f32 v151, 0x3df6dbef, v110, -v151
	;; [unrolled: 1-line block ×4, first 2 shown]
	v_dual_fmac_f32 v153, 0xbf3f9e67, v111 :: v_dual_add_f32 v68, v134, v100
	v_dual_fmamk_f32 v205, v112, 0x3df6dbef, v156 :: v_dual_add_f32 v94, v135, v116
	v_dual_add_f32 v124, v178, v172 :: v_dual_add_f32 v57, v69, v57
	v_add_f32_e32 v67, v101, v70
	v_add_f32_e32 v69, v138, v102
	v_dual_add_f32 v70, v186, v103 :: v_dual_add_f32 v107, v107, v48
	v_add_f32_e32 v48, v53, v60
	v_dual_add_f32 v60, v204, v65 :: v_dual_add_f32 v71, v139, v115
	v_dual_fmac_f32 v157, 0x3f116cb1, v111 :: v_dual_add_f32 v104, v188, v124
	v_dual_fmamk_f32 v213, v112, 0xbeb58ec6, v114 :: v_dual_add_f32 v66, v198, v67
	v_dual_add_f32 v67, v144, v68 :: v_dual_add_f32 v68, v149, v69
	s_delay_alu instid0(VALU_DEP_4)
	v_dual_add_f32 v69, v194, v70 :: v_dual_add_f32 v70, v199, v71
	v_add_f32_e32 v71, v145, v94
	v_add_f32_e32 v117, v128, v118
	v_dual_add_f32 v118, v177, v170 :: v_dual_fmac_f32 v155, 0x3df6dbef, v111
	v_add_f32_e32 v102, v136, v119
	v_dual_add_f32 v48, v48, v56 :: v_dual_add_f32 v53, v110, v54
	s_delay_alu instid0(VALU_DEP_3) | instskip(SKIP_2) | instid1(VALU_DEP_4)
	v_add_f32_e32 v100, v187, v118
	v_fma_f32 v154, 0xbf3f9e67, v112, -v154
	v_fma_f32 v156, 0x3df6dbef, v112, -v156
	v_add_f32_e32 v48, v48, v52
	v_mul_f32_e32 v52, 0xbe750f2a, v59
	v_add_f32_e32 v94, v195, v100
	v_add_f32_e32 v100, v146, v102
	v_dual_add_f32 v102, v196, v104 :: v_dual_add_f32 v123, v182, v171
	v_add_f32_e32 v57, v108, v57
	v_add_f32_e32 v48, v48, v51
	v_dual_add_f32 v108, v109, v49 :: v_dual_add_f32 v65, v156, v68
	s_delay_alu instid0(VALU_DEP_3) | instskip(NEXT) | instid1(VALU_DEP_3)
	v_dual_add_f32 v101, v190, v123 :: v_dual_add_f32 v54, v203, v57
	v_dual_add_f32 v121, v131, v121 :: v_dual_add_f32 v48, v48, v50
	v_add_f32_e32 v55, v55, v83
	v_add_f32_e32 v57, v154, v63
	;; [unrolled: 1-line block ×4, first 2 shown]
	s_delay_alu instid0(VALU_DEP_4) | instskip(SKIP_2) | instid1(VALU_DEP_3)
	v_dual_add_f32 v68, v157, v71 :: v_dual_add_f32 v55, v55, v85
	v_dual_mul_f32 v56, 0x3eedf032, v62 :: v_dual_add_f32 v99, v140, v117
	v_dual_fmamk_f32 v207, v112, 0x3f116cb1, v158 :: v_dual_add_f32 v116, v137, v121
	v_add_f32_e32 v49, v55, v98
	v_fma_f32 v158, 0x3f116cb1, v112, -v158
	v_dual_add_f32 v126, v179, v174 :: v_dual_fmamk_f32 v209, v112, 0xbf788fa5, v160
	v_fma_f32 v160, 0xbf788fa5, v112, -v160
	s_delay_alu instid0(VALU_DEP_4) | instskip(NEXT) | instid1(VALU_DEP_3)
	v_add_f32_e32 v49, v49, v87
	v_dual_add_f32 v93, v150, v99 :: v_dual_add_f32 v118, v189, v126
	v_fma_f32 v50, 0xbeb58ec6, v112, -v114
	v_fma_f32 v51, 0xbf788fa5, v58, -v163
	s_delay_alu instid0(VALU_DEP_4)
	v_add_f32_e32 v49, v49, v89
	v_add_f32_e32 v89, v210, v102
	v_dual_add_f32 v83, v83, v85 :: v_dual_mul_f32 v102, 0x3f52af12, v62
	v_add_f32_e32 v99, v200, v101
	v_add_f32_e32 v101, v151, v103
	v_add_f32_e32 v49, v49, v96
	v_add_f32_e32 v55, v153, v61
	v_dual_add_f32 v61, v205, v66 :: v_dual_add_f32 v66, v206, v69
	v_add_f32_e32 v69, v158, v93
	v_add_f32_e32 v87, v159, v100
	v_dual_add_f32 v93, v160, v101 :: v_dual_add_f32 v100, v213, v64
	v_add_f32_e32 v49, v49, v97
	v_dual_add_f32 v97, v50, v108 :: v_dual_add_f32 v50, v51, v53
	v_fmamk_f32 v51, v83, 0xbf788fa5, v52
	v_fmac_f32_e32 v163, 0xbf788fa5, v58
	v_mul_f32_e32 v64, 0x3eedf032, v59
	v_fma_f32 v101, 0x3f62ad3f, v58, -v56
	v_add_f32_e32 v104, v147, v116
	v_add_f32_e32 v125, v183, v173
	v_fma_f32 v53, 0xbf788fa5, v83, -v52
	v_add_f32_e32 v51, v51, v54
	v_add_f32_e32 v52, v163, v55
	v_dual_add_f32 v98, v161, v104 :: v_dual_fmamk_f32 v55, v83, 0x3f62ad3f, v64
	v_dual_add_f32 v54, v101, v60 :: v_dual_mul_f32 v101, 0xbf29c268, v62
	v_fmac_f32_e32 v56, 0x3f62ad3f, v58
	v_add_f32_e32 v117, v142, v122
	s_delay_alu instid0(VALU_DEP_4)
	v_add_f32_e32 v55, v55, v61
	v_mul_f32_e32 v61, 0xbf29c268, v59
	v_fma_f32 v60, 0xbf3f9e67, v58, -v101
	v_add_f32_e32 v115, v191, v125
	v_add_f32_e32 v67, v207, v70
	;; [unrolled: 1-line block ×3, first 2 shown]
	v_fma_f32 v57, 0x3f62ad3f, v83, -v64
	s_delay_alu instid0(VALU_DEP_4) | instskip(SKIP_3) | instid1(VALU_DEP_4)
	v_dual_add_f32 v60, v60, v66 :: v_dual_add_f32 v103, v201, v115
	v_dual_add_f32 v56, v56, v63 :: v_dual_fmamk_f32 v63, v83, 0xbf3f9e67, v61
	v_dual_mul_f32 v66, 0x3f52af12, v59 :: v_dual_add_f32 v105, v152, v117
	v_dual_add_f32 v70, v208, v94 :: v_dual_add_f32 v71, v209, v99
	v_dual_add_f32 v94, v211, v103 :: v_dual_add_f32 v57, v57, v65
	v_fmac_f32_e32 v101, 0xbf3f9e67, v58
	v_fma_f32 v64, 0xbf3f9e67, v83, -v61
	v_fma_f32 v65, 0x3f116cb1, v58, -v102
	v_add_f32_e32 v61, v63, v67
	v_mul_f32_e32 v103, 0xbf6f5d39, v59
	v_fmamk_f32 v67, v83, 0x3f116cb1, v66
	v_fmac_f32_e32 v102, 0x3f116cb1, v58
	v_dual_add_f32 v96, v162, v105 :: v_dual_add_f32 v63, v101, v68
	v_add_f32_e32 v65, v65, v70
	v_fma_f32 v68, 0x3f116cb1, v83, -v66
	v_fmamk_f32 v70, v83, 0xbeb58ec6, v103
	v_add_f32_e32 v66, v67, v71
	v_add_f32_e32 v67, v102, v87
	v_fma_f32 v71, 0xbeb58ec6, v83, -v103
	v_lshrrev_b32_e32 v87, 2, v74
	v_mul_f32_e32 v101, 0xbf6f5d39, v62
	v_fma_f32 v212, 0xbeb58ec6, v111, -v113
	v_dual_fmac_f32 v113, 0xbeb58ec6, v111 :: v_dual_add_f32 v70, v70, v94
	v_mul_f32_e32 v62, 0x3f7e222b, v62
	v_add_f32_e32 v94, v71, v96
	v_mul_u32_u24_e32 v71, 52, v87
	v_add_f32_e32 v106, v197, v118
	v_add_f32_e32 v64, v64, v69
	v_fma_f32 v69, 0xbeb58ec6, v58, -v101
	v_mul_f32_e32 v59, 0x3f7e222b, v59
	v_add_f32_e32 v85, v113, v107
	v_fma_f32 v87, 0x3df6dbef, v58, -v62
	v_fmac_f32_e32 v62, 0x3df6dbef, v58
	v_or_b32_e32 v71, v71, v81
	v_add_f32_e32 v99, v212, v106
	v_add_f32_e32 v69, v69, v89
	v_fmamk_f32 v89, v83, 0x3df6dbef, v59
	v_fma_f32 v83, 0x3df6dbef, v83, -v59
	v_dual_fmac_f32 v101, 0xbeb58ec6, v58 :: v_dual_add_f32 v96, v62, v85
	v_lshl_add_u32 v62, v71, 3, 0
	s_delay_alu instid0(VALU_DEP_4) | instskip(NEXT) | instid1(VALU_DEP_4)
	v_dual_add_f32 v58, v87, v99 :: v_dual_add_f32 v59, v89, v100
	v_add_f32_e32 v97, v83, v97
	s_delay_alu instid0(VALU_DEP_4)
	v_dual_add_f32 v68, v68, v93 :: v_dual_add_f32 v93, v101, v98
	ds_store_2addr_b64 v62, v[48:49], v[50:51] offset1:4
	ds_store_2addr_b64 v62, v[54:55], v[60:61] offset0:8 offset1:12
	ds_store_2addr_b64 v62, v[65:66], v[69:70] offset0:16 offset1:20
	;; [unrolled: 1-line block ×5, first 2 shown]
	ds_store_b64 v62, v[52:53] offset:384
	s_and_saveexec_b32 s1, s0
	s_cbranch_execz .LBB0_31
; %bb.30:
	v_dual_mul_f32 v48, v91, v47 :: v_dual_mul_f32 v49, v2, v37
	v_dual_mul_f32 v37, v3, v37 :: v_dual_mul_f32 v50, v92, v47
	s_delay_alu instid0(VALU_DEP_2) | instskip(NEXT) | instid1(VALU_DEP_3)
	v_dual_mul_f32 v55, v6, v21 :: v_dual_fmac_f32 v48, v92, v46
	v_fmac_f32_e32 v49, v3, v36
	v_mul_f32_e32 v47, v30, v45
	s_delay_alu instid0(VALU_DEP_4) | instskip(SKIP_1) | instid1(VALU_DEP_4)
	v_fma_f32 v52, v2, v36, -v37
	v_fma_f32 v37, v91, v46, -v50
	v_dual_mul_f32 v3, v31, v45 :: v_dual_add_f32 v36, v49, v48
	s_delay_alu instid0(VALU_DEP_4) | instskip(SKIP_2) | instid1(VALU_DEP_4)
	v_dual_mul_f32 v2, v17, v39 :: v_dual_fmac_f32 v47, v31, v44
	v_mul_f32_e32 v31, v28, v43
	v_mul_f32_e32 v45, v18, v33
	v_dual_mul_f32 v51, v16, v39 :: v_dual_mul_f32 v46, 0xbf788fa5, v36
	v_sub_f32_e32 v57, v49, v48
	s_delay_alu instid0(VALU_DEP_4) | instskip(NEXT) | instid1(VALU_DEP_4)
	v_fmac_f32_e32 v31, v29, v42
	v_fmac_f32_e32 v45, v19, v32
	v_sub_f32_e32 v39, v52, v37
	v_fmac_f32_e32 v51, v17, v38
	v_fma_f32 v38, v16, v38, -v2
	v_mul_f32_e32 v2, v19, v33
	v_add_f32_e32 v16, v45, v31
	v_fmamk_f32 v50, v39, 0x3e750f2a, v46
	v_dual_fmac_f32 v55, v7, v20 :: v_dual_mul_f32 v100, 0xbf7e222b, v39
	s_delay_alu instid0(VALU_DEP_4) | instskip(SKIP_1) | instid1(VALU_DEP_4)
	v_fma_f32 v32, v18, v32, -v2
	v_mul_f32_e32 v18, v9, v35
	v_add_f32_e32 v2, v1, v50
	v_fma_f32 v30, v30, v44, -v3
	v_mul_f32_e32 v44, v8, v35
	v_mul_f32_e32 v35, v12, v23
	v_add_f32_e32 v17, v51, v47
	v_mul_f32_e32 v3, v29, v43
	v_sub_f32_e32 v33, v38, v30
	v_fmac_f32_e32 v44, v9, v34
	v_fma_f32 v34, v8, v34, -v18
	v_dual_fmac_f32 v35, v13, v22 :: v_dual_mul_f32 v18, 0xbe750f2a, v57
	v_mul_f32_e32 v43, v14, v41
	v_mul_f32_e32 v13, v13, v23
	;; [unrolled: 1-line block ×3, first 2 shown]
	v_fmac_f32_e32 v46, 0xbe750f2a, v39
	v_mul_f32_e32 v111, 0xbf52af12, v39
	v_fmac_f32_e32 v43, v15, v40
	v_mul_f32_e32 v15, v15, v41
	v_mul_f32_e32 v41, v10, v25
	v_fma_f32 v53, v12, v22, -v13
	v_dual_add_f32 v13, v38, v30 :: v_dual_mul_f32 v56, v4, v27
	v_sub_f32_e32 v58, v51, v47
	s_delay_alu instid0(VALU_DEP_4) | instskip(SKIP_3) | instid1(VALU_DEP_4)
	v_fmac_f32_e32 v41, v11, v24
	v_mul_f32_e32 v11, v11, v25
	v_mul_f32_e32 v102, 0xbe750f2a, v33
	v_fmac_f32_e32 v56, v5, v26
	v_dual_mul_f32 v107, 0xbe750f2a, v58 :: v_dual_add_f32 v8, v41, v35
	s_delay_alu instid0(VALU_DEP_4) | instskip(SKIP_1) | instid1(VALU_DEP_4)
	v_fma_f32 v50, v10, v24, -v11
	v_add_f32_e32 v9, v44, v43
	v_add_f32_e32 v10, v56, v55
	v_fma_f32 v40, v14, v40, -v15
	v_mul_f32_e32 v22, 0xbeb58ec6, v8
	v_fma_f32 v19, v28, v42, -v3
	v_dual_fmamk_f32 v3, v33, 0xbeedf032, v29 :: v_dual_sub_f32 v54, v50, v53
	v_mul_f32_e32 v28, 0xbf3f9e67, v16
	s_delay_alu instid0(VALU_DEP_3) | instskip(NEXT) | instid1(VALU_DEP_3)
	v_dual_mul_f32 v23, 0x3f116cb1, v9 :: v_dual_sub_f32 v42, v32, v19
	v_dual_add_f32 v2, v3, v2 :: v_dual_sub_f32 v25, v34, v40
	v_sub_f32_e32 v60, v44, v43
	v_add_f32_e32 v11, v52, v37
	s_delay_alu instid0(VALU_DEP_4) | instskip(SKIP_3) | instid1(VALU_DEP_4)
	v_dual_fmamk_f32 v3, v42, 0x3f29c268, v28 :: v_dual_add_f32 v14, v32, v19
	v_fmac_f32_e32 v29, 0x3eedf032, v33
	v_mul_f32_e32 v108, 0xbf52af12, v54
	v_mul_f32_e32 v120, 0xbf6f5d39, v58
	v_dual_add_f32 v2, v3, v2 :: v_dual_fmamk_f32 v3, v25, 0xbf52af12, v23
	v_dual_add_f32 v12, v34, v40 :: v_dual_fmac_f32 v23, 0x3f52af12, v25
	v_mul_f32_e32 v106, 0x3eedf032, v25
	s_delay_alu instid0(VALU_DEP_3) | instskip(SKIP_4) | instid1(VALU_DEP_4)
	v_dual_mul_f32 v125, 0x3f29c268, v60 :: v_dual_add_f32 v2, v3, v2
	v_dual_fmamk_f32 v3, v54, 0x3f6f5d39, v22 :: v_dual_sub_f32 v62, v41, v35
	v_fmac_f32_e32 v28, 0xbf29c268, v42
	v_fmac_f32_e32 v22, 0xbf6f5d39, v54
	v_mul_f32_e32 v67, 0x3f7e222b, v58
	v_dual_add_f32 v2, v3, v2 :: v_dual_mul_f32 v3, v5, v27
	v_mul_f32_e32 v5, v7, v21
	v_fmamk_f32 v7, v11, 0xbf788fa5, v18
	v_mul_f32_e32 v21, 0x3eedf032, v58
	v_sub_f32_e32 v27, v45, v31
	v_fma_f32 v26, v4, v26, -v3
	v_fma_f32 v59, v6, v20, -v5
	s_delay_alu instid0(VALU_DEP_4) | instskip(NEXT) | instid1(VALU_DEP_4)
	v_dual_add_f32 v3, v0, v7 :: v_dual_fmamk_f32 v4, v13, 0x3f62ad3f, v21
	v_mul_f32_e32 v5, 0xbf29c268, v27
	s_delay_alu instid0(VALU_DEP_3) | instskip(SKIP_1) | instid1(VALU_DEP_3)
	v_dual_mul_f32 v6, 0x3df6dbef, v10 :: v_dual_sub_f32 v61, v26, v59
	v_mul_f32_e32 v7, 0x3f52af12, v60
	v_dual_add_f32 v3, v4, v3 :: v_dual_fmamk_f32 v4, v14, 0xbf3f9e67, v5
	v_mul_f32_e32 v63, 0xbf6f5d39, v62
	s_delay_alu instid0(VALU_DEP_4) | instskip(NEXT) | instid1(VALU_DEP_4)
	v_fmamk_f32 v20, v61, 0xbf7e222b, v6
	v_fmamk_f32 v24, v12, 0x3f116cb1, v7
	v_mul_f32_e32 v69, 0xbf52af12, v27
	v_dual_add_f32 v4, v4, v3 :: v_dual_mul_f32 v85, 0x3eedf032, v62
	s_delay_alu instid0(VALU_DEP_4) | instskip(SKIP_2) | instid1(VALU_DEP_4)
	v_add_f32_e32 v3, v20, v2
	v_add_f32_e32 v2, v1, v46
	v_sub_f32_e32 v46, v56, v55
	v_dual_add_f32 v4, v24, v4 :: v_dual_add_f32 v15, v50, v53
	v_fma_f32 v24, 0xbf788fa5, v11, -v18
	s_delay_alu instid0(VALU_DEP_4) | instskip(NEXT) | instid1(VALU_DEP_4)
	v_add_f32_e32 v2, v29, v2
	v_dual_add_f32 v18, v26, v59 :: v_dual_mul_f32 v91, 0xbf6f5d39, v46
	v_mul_f32_e32 v92, 0xbf6f5d39, v57
	v_fmamk_f32 v20, v15, 0xbeb58ec6, v63
	v_add_f32_e32 v24, v0, v24
	v_fma_f32 v21, 0x3f62ad3f, v13, -v21
	v_add_f32_e32 v2, v28, v2
	v_fma_f32 v5, 0xbf3f9e67, v14, -v5
	v_add_f32_e32 v4, v20, v4
	s_delay_alu instid0(VALU_DEP_4) | instskip(SKIP_4) | instid1(VALU_DEP_4)
	v_dual_mul_f32 v28, 0xbf29c268, v39 :: v_dual_add_f32 v21, v21, v24
	v_mul_f32_e32 v29, 0x3f7e222b, v46
	v_dual_add_f32 v23, v23, v2 :: v_dual_fmac_f32 v6, 0x3f7e222b, v61
	v_mul_f32_e32 v64, 0x3f7e222b, v33
	v_mul_f32_e32 v97, 0x3eedf032, v27
	v_fmamk_f32 v20, v18, 0x3df6dbef, v29
	v_dual_mul_f32 v99, 0x3f52af12, v61 :: v_dual_mul_f32 v104, 0x3f52af12, v46
	v_mul_f32_e32 v101, 0x3e750f2a, v62
	s_delay_alu instid0(VALU_DEP_3)
	v_dual_mul_f32 v105, 0xbf7e222b, v57 :: v_dual_add_f32 v2, v20, v4
	v_add_f32_e32 v4, v5, v21
	v_fma_f32 v5, 0x3f116cb1, v12, -v7
	v_dual_fmamk_f32 v20, v36, 0xbf3f9e67, v28 :: v_dual_add_f32 v7, v22, v23
	v_fma_f32 v21, 0xbeb58ec6, v15, -v63
	v_fmamk_f32 v22, v17, 0x3df6dbef, v64
	s_delay_alu instid0(VALU_DEP_4) | instskip(NEXT) | instid1(VALU_DEP_4)
	v_add_f32_e32 v4, v5, v4
	v_dual_add_f32 v20, v1, v20 :: v_dual_add_f32 v5, v6, v7
	v_mul_f32_e32 v65, 0xbf29c268, v57
	s_delay_alu instid0(VALU_DEP_3) | instskip(NEXT) | instid1(VALU_DEP_3)
	v_dual_mul_f32 v63, 0xbf52af12, v42 :: v_dual_add_f32 v4, v21, v4
	v_add_f32_e32 v6, v22, v20
	v_fma_f32 v20, 0x3df6dbef, v18, -v29
	s_delay_alu instid0(VALU_DEP_4)
	v_fma_f32 v21, 0xbf3f9e67, v11, -v65
	v_mul_f32_e32 v68, 0x3eedf032, v54
	v_fma_f32 v22, 0x3df6dbef, v13, -v67
	v_fma_f32 v23, 0x3f62ad3f, v15, -v85
	v_dual_add_f32 v4, v20, v4 :: v_dual_mul_f32 v71, 0xbf6f5d39, v61
	v_add_f32_e32 v21, v0, v21
	v_fmamk_f32 v7, v16, 0x3f116cb1, v63
	v_mul_f32_e32 v83, 0xbf6f5d39, v39
	v_dual_mul_f32 v103, 0x3f6f5d39, v42 :: v_dual_mul_f32 v110, 0x3f6f5d39, v27
	s_delay_alu instid0(VALU_DEP_4)
	v_add_f32_e32 v20, v22, v21
	v_fma_f32 v21, 0x3f116cb1, v14, -v69
	v_mul_f32_e32 v66, 0x3e750f2a, v25
	v_add_f32_e32 v6, v7, v6
	v_fmamk_f32 v22, v36, 0xbeb58ec6, v83
	v_fma_f32 v109, 0xbf788fa5, v13, -v107
	v_mul_f32_e32 v113, 0xbf52af12, v62
	v_fmamk_f32 v7, v9, 0xbf788fa5, v66
	v_mul_f32_e32 v39, 0xbeedf032, v39
	v_fma_f32 v122, 0xbeb58ec6, v13, -v120
	v_mul_f32_e32 v127, 0xbf52af12, v33
	v_fma_f32 v116, 0x3f116cb1, v15, -v113
	v_dual_add_f32 v6, v7, v6 :: v_dual_fmamk_f32 v7, v8, 0x3f62ad3f, v68
	v_fmamk_f32 v126, v36, 0x3f62ad3f, v39
	s_delay_alu instid0(VALU_DEP_4)
	v_fmamk_f32 v128, v17, 0x3f116cb1, v127
	v_mul_f32_e32 v123, 0xbe750f2a, v27
	v_fma_f32 v28, 0xbf3f9e67, v36, -v28
	v_dual_add_f32 v6, v7, v6 :: v_dual_add_f32 v7, v21, v20
	v_fmamk_f32 v21, v10, 0xbeb58ec6, v71
	v_mul_f32_e32 v70, 0x3e750f2a, v60
	v_add_f32_e32 v126, v1, v126
	v_mul_f32_e32 v118, 0xbe750f2a, v42
	v_add_f32_e32 v28, v1, v28
	s_delay_alu instid0(VALU_DEP_4) | instskip(NEXT) | instid1(VALU_DEP_4)
	v_fma_f32 v20, 0xbf788fa5, v12, -v70
	v_add_f32_e32 v126, v128, v126
	s_delay_alu instid0(VALU_DEP_2) | instskip(SKIP_2) | instid1(VALU_DEP_3)
	v_dual_add_f32 v20, v20, v7 :: v_dual_add_f32 v7, v21, v6
	v_dual_add_f32 v6, v1, v22 :: v_dual_mul_f32 v87, 0x3f29c268, v33
	v_fma_f32 v22, 0xbeb58ec6, v18, -v91
	v_add_f32_e32 v20, v23, v20
	v_fma_f32 v23, 0xbeb58ec6, v11, -v92
	v_mul_f32_e32 v94, 0x3f29c268, v58
	v_fmamk_f32 v21, v17, 0xbf3f9e67, v87
	v_fmac_f32_e32 v85, 0x3f62ad3f, v15
	v_fmac_f32_e32 v65, 0xbf3f9e67, v11
	v_add_f32_e32 v23, v0, v23
	v_fma_f32 v24, 0xbf3f9e67, v13, -v94
	v_mul_f32_e32 v89, 0x3eedf032, v42
	v_add_f32_e32 v6, v21, v6
	v_fmac_f32_e32 v94, 0xbf3f9e67, v13
	v_fmac_f32_e32 v92, 0xbeb58ec6, v11
	;; [unrolled: 1-line block ×3, first 2 shown]
	v_fmamk_f32 v21, v16, 0x3f62ad3f, v89
	s_delay_alu instid0(VALU_DEP_1) | instskip(NEXT) | instid1(VALU_DEP_1)
	v_dual_mul_f32 v93, 0xbf7e222b, v25 :: v_dual_add_f32 v6, v21, v6
	v_fmamk_f32 v21, v9, 0x3df6dbef, v93
	s_delay_alu instid0(VALU_DEP_1)
	v_dual_add_f32 v21, v21, v6 :: v_dual_add_f32 v6, v22, v20
	v_add_f32_e32 v20, v24, v23
	v_fmamk_f32 v24, v36, 0x3df6dbef, v100
	v_fma_f32 v22, 0x3f62ad3f, v14, -v97
	v_fmamk_f32 v23, v10, 0x3f116cb1, v99
	v_mul_f32_e32 v98, 0xbf7e222b, v60
	v_mul_f32_e32 v96, 0x3e750f2a, v54
	s_delay_alu instid0(VALU_DEP_4) | instskip(NEXT) | instid1(VALU_DEP_3)
	v_add_f32_e32 v20, v22, v20
	v_fma_f32 v22, 0x3df6dbef, v12, -v98
	s_delay_alu instid0(VALU_DEP_1) | instskip(SKIP_1) | instid1(VALU_DEP_1)
	v_add_f32_e32 v20, v22, v20
	v_fma_f32 v22, 0xbf788fa5, v15, -v101
	v_dual_fmamk_f32 v29, v8, 0xbf788fa5, v96 :: v_dual_add_f32 v20, v22, v20
	s_delay_alu instid0(VALU_DEP_1) | instskip(SKIP_1) | instid1(VALU_DEP_2)
	v_add_f32_e32 v21, v29, v21
	v_fma_f32 v29, 0x3df6dbef, v11, -v105
	v_add_f32_e32 v21, v23, v21
	v_add_f32_e32 v23, v1, v24
	s_delay_alu instid0(VALU_DEP_3) | instskip(SKIP_1) | instid1(VALU_DEP_2)
	v_dual_fmamk_f32 v24, v17, 0xbf788fa5, v102 :: v_dual_add_f32 v29, v0, v29
	v_fmac_f32_e32 v98, 0x3df6dbef, v12
	v_add_f32_e32 v22, v24, v23
	v_fmamk_f32 v23, v16, 0xbeb58ec6, v103
	v_fma_f32 v24, 0x3f116cb1, v18, -v104
	v_fmac_f32_e32 v104, 0x3f116cb1, v18
	s_delay_alu instid0(VALU_DEP_2)
	v_dual_fmac_f32 v69, 0x3f116cb1, v14 :: v_dual_add_f32 v20, v24, v20
	v_add_f32_e32 v24, v109, v29
	v_dual_add_f32 v22, v23, v22 :: v_dual_mul_f32 v109, 0x3eedf032, v60
	v_fmamk_f32 v23, v9, 0x3f62ad3f, v106
	v_fma_f32 v29, 0xbeb58ec6, v14, -v110
	v_fmac_f32_e32 v110, 0xbeb58ec6, v14
	s_delay_alu instid0(VALU_DEP_3) | instskip(NEXT) | instid1(VALU_DEP_1)
	v_dual_add_f32 v22, v23, v22 :: v_dual_fmamk_f32 v23, v8, 0x3f116cb1, v108
	v_dual_add_f32 v22, v23, v22 :: v_dual_add_f32 v23, v29, v24
	v_mul_f32_e32 v112, 0xbf29c268, v61
	v_fmamk_f32 v29, v36, 0x3f116cb1, v111
	v_fma_f32 v24, 0x3f62ad3f, v12, -v109
	v_fmac_f32_e32 v109, 0x3f62ad3f, v12
	s_delay_alu instid0(VALU_DEP_3) | instskip(NEXT) | instid1(VALU_DEP_3)
	v_add_f32_e32 v29, v1, v29
	v_dual_fmamk_f32 v115, v10, 0xbf3f9e67, v112 :: v_dual_add_f32 v24, v24, v23
	v_fmac_f32_e32 v113, 0x3f116cb1, v15
	s_delay_alu instid0(VALU_DEP_2) | instskip(NEXT) | instid1(VALU_DEP_3)
	v_add_f32_e32 v23, v115, v22
	v_dual_mul_f32 v115, 0xbf52af12, v57 :: v_dual_add_f32 v22, v116, v24
	v_mul_f32_e32 v57, 0xbeedf032, v57
	s_delay_alu instid0(VALU_DEP_2) | instskip(NEXT) | instid1(VALU_DEP_1)
	v_fma_f32 v119, 0x3f116cb1, v11, -v115
	v_dual_mul_f32 v114, 0xbf6f5d39, v33 :: v_dual_add_f32 v119, v0, v119
	s_delay_alu instid0(VALU_DEP_1) | instskip(NEXT) | instid1(VALU_DEP_2)
	v_fmamk_f32 v117, v17, 0xbeb58ec6, v114
	v_dual_mul_f32 v116, 0x3f29c268, v25 :: v_dual_add_f32 v119, v122, v119
	s_delay_alu instid0(VALU_DEP_2) | instskip(SKIP_1) | instid1(VALU_DEP_2)
	v_dual_add_f32 v24, v117, v29 :: v_dual_fmamk_f32 v29, v16, 0xbf788fa5, v118
	v_fma_f32 v122, 0xbf788fa5, v14, -v123
	v_add_f32_e32 v24, v29, v24
	s_delay_alu instid0(VALU_DEP_4) | instskip(SKIP_1) | instid1(VALU_DEP_2)
	v_fmamk_f32 v29, v9, 0xbf3f9e67, v116
	v_mul_f32_e32 v117, 0xbf29c268, v46
	v_dual_fmac_f32 v115, 0x3f116cb1, v11 :: v_dual_add_f32 v24, v29, v24
	v_mul_f32_e32 v121, 0x3f7e222b, v54
	s_delay_alu instid0(VALU_DEP_3) | instskip(SKIP_2) | instid1(VALU_DEP_4)
	v_fma_f32 v124, 0xbf3f9e67, v18, -v117
	v_mul_f32_e32 v54, 0xbf29c268, v54
	v_fmac_f32_e32 v117, 0xbf3f9e67, v18
	v_fmamk_f32 v29, v8, 0x3df6dbef, v121
	s_delay_alu instid0(VALU_DEP_4) | instskip(SKIP_1) | instid1(VALU_DEP_3)
	v_add_f32_e32 v22, v124, v22
	v_mul_f32_e32 v124, 0x3eedf032, v61
	v_dual_add_f32 v24, v29, v24 :: v_dual_add_f32 v29, v122, v119
	v_fma_f32 v119, 0xbf3f9e67, v12, -v125
	v_mul_f32_e32 v122, 0x3f7e222b, v62
	v_dual_fmac_f32 v91, 0xbeb58ec6, v18 :: v_dual_fmac_f32 v120, 0xbeb58ec6, v13
	s_delay_alu instid0(VALU_DEP_3) | instskip(NEXT) | instid1(VALU_DEP_3)
	v_add_f32_e32 v29, v119, v29
	v_fma_f32 v33, 0x3df6dbef, v15, -v122
	v_mul_f32_e32 v119, 0x3eedf032, v46
	v_mul_f32_e32 v42, 0xbf7e222b, v42
	v_fmamk_f32 v129, v10, 0x3f62ad3f, v124
	s_delay_alu instid0(VALU_DEP_4) | instskip(NEXT) | instid1(VALU_DEP_4)
	v_dual_mul_f32 v46, 0xbe750f2a, v46 :: v_dual_add_f32 v29, v33, v29
	v_fma_f32 v33, 0x3f62ad3f, v18, -v119
	s_delay_alu instid0(VALU_DEP_4) | instskip(NEXT) | instid1(VALU_DEP_4)
	v_fmamk_f32 v128, v16, 0x3df6dbef, v42
	v_dual_mul_f32 v130, 0xbf6f5d39, v25 :: v_dual_add_f32 v25, v129, v24
	s_delay_alu instid0(VALU_DEP_3) | instskip(NEXT) | instid1(VALU_DEP_3)
	v_dual_fmac_f32 v119, 0x3f62ad3f, v18 :: v_dual_add_f32 v24, v33, v29
	v_add_f32_e32 v33, v128, v126
	v_add_f32_e32 v29, v1, v49
	v_fmac_f32_e32 v123, 0xbf788fa5, v14
	v_fmac_f32_e32 v122, 0x3df6dbef, v15
	s_delay_alu instid0(VALU_DEP_3) | instskip(SKIP_2) | instid1(VALU_DEP_2)
	v_add_f32_e32 v29, v29, v51
	v_add_f32_e32 v51, v0, v52
	v_fma_f32 v52, 0x3f62ad3f, v11, -v57
	v_dual_add_f32 v29, v29, v45 :: v_dual_add_f32 v38, v51, v38
	v_mul_f32_e32 v51, 0xbe750f2a, v61
	v_mul_f32_e32 v45, 0xbf52af12, v58
	s_delay_alu instid0(VALU_DEP_3) | instskip(NEXT) | instid1(VALU_DEP_4)
	v_add_f32_e32 v29, v29, v44
	v_add_f32_e32 v32, v38, v32
	v_mul_f32_e32 v44, 0xbf7e222b, v27
	s_delay_alu instid0(VALU_DEP_4) | instskip(NEXT) | instid1(VALU_DEP_4)
	v_fma_f32 v38, 0x3f116cb1, v13, -v45
	v_add_f32_e32 v27, v29, v41
	s_delay_alu instid0(VALU_DEP_4) | instskip(NEXT) | instid1(VALU_DEP_4)
	v_add_f32_e32 v29, v32, v34
	v_fma_f32 v34, 0x3df6dbef, v14, -v44
	v_fmac_f32_e32 v44, 0x3df6dbef, v14
	v_fmac_f32_e32 v101, 0xbf788fa5, v15
	s_delay_alu instid0(VALU_DEP_4) | instskip(NEXT) | instid1(VALU_DEP_1)
	v_add_f32_e32 v29, v29, v50
	v_add_f32_e32 v26, v29, v26
	s_delay_alu instid0(VALU_DEP_1) | instskip(NEXT) | instid1(VALU_DEP_1)
	v_dual_fmamk_f32 v49, v9, 0xbeb58ec6, v130 :: v_dual_add_f32 v26, v26, v59
	v_add_f32_e32 v33, v49, v33
	s_delay_alu instid0(VALU_DEP_2) | instskip(NEXT) | instid1(VALU_DEP_1)
	v_dual_fmamk_f32 v49, v8, 0xbf3f9e67, v54 :: v_dual_add_f32 v26, v26, v53
	v_add_f32_e32 v33, v49, v33
	v_add_f32_e32 v49, v0, v52
	s_delay_alu instid0(VALU_DEP_1) | instskip(SKIP_2) | instid1(VALU_DEP_3)
	v_add_f32_e32 v32, v38, v49
	v_mul_f32_e32 v38, 0xbf6f5d39, v60
	v_fmac_f32_e32 v125, 0xbf3f9e67, v12
	v_add_f32_e32 v32, v34, v32
	s_delay_alu instid0(VALU_DEP_3) | instskip(SKIP_2) | instid1(VALU_DEP_3)
	v_fma_f32 v34, 0xbeb58ec6, v12, -v38
	v_fmac_f32_e32 v38, 0xbeb58ec6, v12
	v_fmac_f32_e32 v105, 0x3df6dbef, v11
	v_add_f32_e32 v29, v34, v32
	v_fma_f32 v34, 0x3df6dbef, v17, -v64
	s_delay_alu instid0(VALU_DEP_1) | instskip(SKIP_2) | instid1(VALU_DEP_1)
	v_add_f32_e32 v28, v34, v28
	v_add_f32_e32 v27, v27, v56
	v_fma_f32 v34, 0x3f116cb1, v16, -v63
	v_dual_add_f32 v49, v27, v55 :: v_dual_add_f32 v28, v34, v28
	v_fma_f32 v34, 0x3df6dbef, v36, -v100
	s_delay_alu instid0(VALU_DEP_2) | instskip(SKIP_1) | instid1(VALU_DEP_3)
	v_dual_fmac_f32 v67, 0x3df6dbef, v13 :: v_dual_add_f32 v32, v49, v35
	v_fma_f32 v35, 0xbf788fa5, v17, -v102
	v_dual_add_f32 v34, v1, v34 :: v_dual_fmac_f32 v57, 0x3f62ad3f, v11
	s_delay_alu instid0(VALU_DEP_3) | instskip(NEXT) | instid1(VALU_DEP_2)
	v_dual_fmac_f32 v97, 0x3f62ad3f, v14 :: v_dual_add_f32 v32, v32, v43
	v_dual_fmac_f32 v45, 0x3f116cb1, v13 :: v_dual_add_f32 v34, v35, v34
	v_fma_f32 v35, 0xbeb58ec6, v16, -v103
	v_lshrrev_b32_e32 v14, 2, v79
	s_delay_alu instid0(VALU_DEP_4) | instskip(SKIP_1) | instid1(VALU_DEP_4)
	v_dual_add_f32 v31, v32, v31 :: v_dual_add_f32 v32, v26, v40
	v_fma_f32 v40, 0xbeb58ec6, v17, -v114
	v_add_f32_e32 v34, v35, v34
	v_fma_f32 v35, 0x3f62ad3f, v9, -v106
	s_delay_alu instid0(VALU_DEP_4) | instskip(SKIP_1) | instid1(VALU_DEP_3)
	v_add_f32_e32 v19, v32, v19
	v_dual_add_f32 v32, v0, v65 :: v_dual_fmamk_f32 v41, v10, 0xbf788fa5, v51
	v_add_f32_e32 v34, v35, v34
	v_fma_f32 v35, 0x3f116cb1, v8, -v108
	s_delay_alu instid0(VALU_DEP_4) | instskip(NEXT) | instid1(VALU_DEP_4)
	v_add_f32_e32 v19, v19, v30
	v_dual_add_f32 v32, v67, v32 :: v_dual_add_f32 v27, v41, v33
	v_mul_f32_e32 v41, 0xbf29c268, v62
	s_delay_alu instid0(VALU_DEP_4) | instskip(SKIP_1) | instid1(VALU_DEP_4)
	v_add_f32_e32 v34, v35, v34
	v_fma_f32 v35, 0xbf3f9e67, v10, -v112
	v_add_f32_e32 v32, v69, v32
	s_delay_alu instid0(VALU_DEP_4) | instskip(NEXT) | instid1(VALU_DEP_3)
	v_fma_f32 v33, 0xbf3f9e67, v15, -v41
	v_add_f32_e32 v35, v35, v34
	s_delay_alu instid0(VALU_DEP_2) | instskip(SKIP_2) | instid1(VALU_DEP_2)
	v_add_f32_e32 v29, v33, v29
	v_fma_f32 v33, 0xbf788fa5, v18, -v46
	v_fmac_f32_e32 v46, 0xbf788fa5, v18
	v_dual_add_f32 v26, v33, v29 :: v_dual_add_f32 v29, v31, v47
	v_fma_f32 v31, 0xbf788fa5, v9, -v66
	v_fma_f32 v33, 0xbf3f9e67, v17, -v87
	;; [unrolled: 1-line block ×3, first 2 shown]
	s_delay_alu instid0(VALU_DEP_4) | instskip(NEXT) | instid1(VALU_DEP_4)
	v_add_f32_e32 v29, v29, v48
	v_add_f32_e32 v30, v31, v28
	v_fma_f32 v31, 0x3f62ad3f, v8, -v68
	v_add_f32_e32 v28, v19, v37
	v_fma_f32 v19, 0xbeb58ec6, v36, -v83
	s_delay_alu instid0(VALU_DEP_3) | instskip(SKIP_1) | instid1(VALU_DEP_3)
	v_dual_fmac_f32 v41, 0xbf3f9e67, v15 :: v_dual_add_f32 v30, v31, v30
	v_fma_f32 v31, 0xbeb58ec6, v10, -v71
	v_add_f32_e32 v19, v1, v19
	s_delay_alu instid0(VALU_DEP_2) | instskip(NEXT) | instid1(VALU_DEP_2)
	v_dual_add_f32 v31, v31, v30 :: v_dual_add_f32 v30, v70, v32
	v_add_f32_e32 v19, v33, v19
	v_fma_f32 v32, 0x3f62ad3f, v16, -v89
	s_delay_alu instid0(VALU_DEP_3) | instskip(NEXT) | instid1(VALU_DEP_2)
	v_dual_add_f32 v33, v0, v92 :: v_dual_add_f32 v30, v85, v30
	v_add_f32_e32 v19, v32, v19
	v_fma_f32 v32, 0x3df6dbef, v9, -v93
	s_delay_alu instid0(VALU_DEP_3) | instskip(NEXT) | instid1(VALU_DEP_2)
	;; [unrolled: 4-line block ×3, first 2 shown]
	v_add_f32_e32 v33, v97, v33
	v_add_f32_e32 v19, v32, v19
	v_fma_f32 v32, 0x3f116cb1, v10, -v99
	s_delay_alu instid0(VALU_DEP_3) | instskip(NEXT) | instid1(VALU_DEP_2)
	v_add_f32_e32 v37, v98, v33
	v_add_f32_e32 v33, v32, v19
	s_delay_alu instid0(VALU_DEP_2) | instskip(SKIP_1) | instid1(VALU_DEP_2)
	v_add_f32_e32 v19, v101, v37
	v_add_f32_e32 v37, v0, v105
	;; [unrolled: 1-line block ×3, first 2 shown]
	v_fma_f32 v19, 0x3f116cb1, v36, -v111
	v_fma_f32 v36, 0x3f62ad3f, v36, -v39
	s_delay_alu instid0(VALU_DEP_2) | instskip(NEXT) | instid1(VALU_DEP_2)
	v_add_f32_e32 v19, v1, v19
	v_add_f32_e32 v1, v1, v36
	s_delay_alu instid0(VALU_DEP_2) | instskip(SKIP_1) | instid1(VALU_DEP_3)
	v_add_f32_e32 v19, v40, v19
	v_fma_f32 v40, 0xbf788fa5, v16, -v118
	v_add_f32_e32 v1, v17, v1
	v_fma_f32 v16, 0x3df6dbef, v16, -v42
	s_delay_alu instid0(VALU_DEP_3) | instskip(SKIP_2) | instid1(VALU_DEP_4)
	v_add_f32_e32 v19, v40, v19
	v_add_f32_e32 v40, v0, v115
	;; [unrolled: 1-line block ×4, first 2 shown]
	s_delay_alu instid0(VALU_DEP_3) | instskip(NEXT) | instid1(VALU_DEP_3)
	v_add_f32_e32 v40, v120, v40
	v_add_f32_e32 v0, v45, v0
	s_delay_alu instid0(VALU_DEP_2) | instskip(NEXT) | instid1(VALU_DEP_1)
	v_add_f32_e32 v11, v123, v40
	v_dual_add_f32 v0, v44, v0 :: v_dual_add_f32 v11, v125, v11
	s_delay_alu instid0(VALU_DEP_1) | instskip(SKIP_2) | instid1(VALU_DEP_3)
	v_dual_add_f32 v0, v38, v0 :: v_dual_fmac_f32 v107, 0xbf788fa5, v13
	v_fma_f32 v13, 0x3f62ad3f, v10, -v124
	v_fma_f32 v10, 0xbf788fa5, v10, -v51
	v_dual_add_f32 v11, v122, v11 :: v_dual_add_f32 v12, v41, v0
	s_delay_alu instid0(VALU_DEP_4) | instskip(NEXT) | instid1(VALU_DEP_1)
	v_add_f32_e32 v37, v107, v37
	v_dual_add_f32 v0, v119, v11 :: v_dual_add_f32 v37, v110, v37
	s_delay_alu instid0(VALU_DEP_1) | instskip(SKIP_2) | instid1(VALU_DEP_3)
	v_add_f32_e32 v34, v109, v37
	v_fma_f32 v37, 0xbf3f9e67, v9, -v116
	v_fma_f32 v9, 0xbeb58ec6, v9, -v130
	v_add_f32_e32 v34, v113, v34
	s_delay_alu instid0(VALU_DEP_3) | instskip(NEXT) | instid1(VALU_DEP_3)
	v_add_f32_e32 v19, v37, v19
	v_add_f32_e32 v1, v9, v1
	v_mul_u32_u24_e32 v9, 52, v14
	v_fma_f32 v37, 0x3df6dbef, v8, -v121
	v_fma_f32 v8, 0xbf3f9e67, v8, -v54
	v_add_f32_e32 v34, v117, v34
	s_delay_alu instid0(VALU_DEP_4) | instskip(NEXT) | instid1(VALU_DEP_3)
	v_or_b32_e32 v9, v9, v81
	v_dual_add_f32 v19, v37, v19 :: v_dual_add_f32 v8, v8, v1
	s_delay_alu instid0(VALU_DEP_2) | instskip(NEXT) | instid1(VALU_DEP_2)
	v_lshl_add_u32 v14, v9, 3, 0
	v_add_f32_e32 v1, v13, v19
	s_delay_alu instid0(VALU_DEP_3)
	v_add_f32_e32 v9, v10, v8
	v_add_f32_e32 v8, v46, v12
	ds_store_2addr_b64 v14, v[28:29], v[26:27] offset1:4
	ds_store_2addr_b64 v14, v[24:25], v[22:23] offset0:8 offset1:12
	ds_store_2addr_b64 v14, v[20:21], v[6:7] offset0:16 offset1:20
	;; [unrolled: 1-line block ×5, first 2 shown]
	ds_store_b64 v14, v[8:9] offset:384
.LBB0_31:
	s_wait_alu 0xfffe
	s_or_b32 exec_lo, exec_lo, s1
	v_mul_u32_u24_e32 v0, 6, v74
	global_wb scope:SCOPE_SE
	s_wait_dscnt 0x0
	s_barrier_signal -1
	s_barrier_wait -1
	global_inv scope:SCOPE_SE
	v_dual_mov_b32 v79, 0 :: v_dual_lshlrev_b32 v0, 3, v0
	v_add_nc_u32_e32 v34, 0x1000, v95
	v_add_nc_u32_e32 v36, 0x1800, v95
	;; [unrolled: 1-line block ×3, first 2 shown]
	s_clause 0x2
	global_load_b128 v[28:31], v0, s[8:9] offset:400
	global_load_b128 v[24:27], v0, s[8:9] offset:416
	;; [unrolled: 1-line block ×3, first 2 shown]
	v_dual_mov_b32 v83, v79 :: v_dual_and_b32 v0, 0xff, v75
	v_mov_b32_e32 v91, v79
	v_add_nc_u32_e32 v37, 0x1400, v95
	v_mov_b32_e32 v87, v79
	v_mov_b32_e32 v85, v79
	v_mul_lo_u16 v0, 0x4f, v0
	v_lshlrev_b64_e32 v[92:93], 3, v[78:79]
	v_lshlrev_b64_e32 v[90:91], 3, v[90:91]
	;; [unrolled: 1-line block ×4, first 2 shown]
	v_lshrrev_b16 v0, 12, v0
	v_lshlrev_b64_e32 v[82:83], 3, v[82:83]
	v_add_co_u32 v92, s0, s8, v92
	s_wait_alu 0xf1ff
	v_add_co_ci_u32_e64 v93, s0, s9, v93, s0
	v_mul_lo_u16 v0, v0, 52
	v_add_co_u32 v90, s0, s8, v90
	s_wait_alu 0xf1ff
	v_add_co_ci_u32_e64 v91, s0, s9, v91, s0
	s_delay_alu instid0(VALU_DEP_3) | instskip(SKIP_1) | instid1(VALU_DEP_2)
	v_sub_nc_u16 v0, v75, v0
	v_mov_b32_e32 v89, v79
	v_and_b32_e32 v39, 0xff, v0
	s_delay_alu instid0(VALU_DEP_2) | instskip(NEXT) | instid1(VALU_DEP_2)
	v_lshlrev_b64_e32 v[88:89], 3, v[88:89]
	v_mul_u32_u24_e32 v0, 6, v39
	s_delay_alu instid0(VALU_DEP_2) | instskip(SKIP_1) | instid1(VALU_DEP_3)
	v_add_co_u32 v88, s0, s8, v88
	s_wait_alu 0xf1ff
	v_add_co_ci_u32_e64 v89, s0, s9, v89, s0
	s_delay_alu instid0(VALU_DEP_3)
	v_lshlrev_b32_e32 v0, 3, v0
	s_clause 0x2
	global_load_b128 v[12:15], v0, s[8:9] offset:400
	global_load_b128 v[8:11], v0, s[8:9] offset:416
	;; [unrolled: 1-line block ×3, first 2 shown]
	ds_load_2addr_b64 v[16:19], v95 offset1:52
	ds_load_2addr_b64 v[0:3], v95 offset0:104 offset1:156
	v_add_nc_u32_e32 v35, 0x800, v95
	ds_load_b64 v[32:33], v95 offset:8320
	s_wait_loadcnt_dscnt 0x501
	v_mul_f32_e32 v96, v29, v2
	ds_load_2addr_b64 v[40:43], v35 offset0:56 offset1:108
	ds_load_2addr_b64 v[44:47], v35 offset0:160 offset1:212
	;; [unrolled: 1-line block ×8, first 2 shown]
	v_mul_f32_e32 v94, v29, v3
	v_lshl_add_u32 v39, v39, 3, 0
	global_wb scope:SCOPE_SE
	s_wait_loadcnt_dscnt 0x0
	s_barrier_signal -1
	s_barrier_wait -1
	v_fma_f32 v2, v28, v2, -v94
	v_add_nc_u32_e32 v75, 0x1400, v39
	global_inv scope:SCOPE_SE
	v_dual_mov_b32 v81, v79 :: v_dual_add_nc_u32 v78, 0x1800, v39
	v_dual_fmac_f32 v96, v28, v3 :: v_dual_mul_f32 v97, v31, v41
	v_mul_f32_e32 v98, v31, v40
	v_mul_f32_e32 v102, v48, v27
	v_dual_mul_f32 v99, v25, v47 :: v_dual_mul_f32 v104, v54, v21
	v_mul_f32_e32 v100, v25, v46
	s_delay_alu instid0(VALU_DEP_4) | instskip(SKIP_1) | instid1(VALU_DEP_4)
	v_dual_mul_f32 v101, v49, v27 :: v_dual_fmac_f32 v98, v30, v41
	v_dual_mul_f32 v103, v55, v21 :: v_dual_mul_f32 v106, v56, v23
	v_dual_mul_f32 v105, v57, v23 :: v_dual_fmac_f32 v104, v55, v20
	v_dual_mul_f32 v107, v61, v29 :: v_dual_mul_f32 v108, v43, v31
	v_dual_mul_f32 v29, v60, v29 :: v_dual_mul_f32 v110, v51, v27
	v_dual_mul_f32 v31, v42, v31 :: v_dual_fmac_f32 v102, v49, v26
	v_dual_mul_f32 v109, v65, v25 :: v_dual_mul_f32 v112, v59, v23
	v_dual_mul_f32 v25, v64, v25 :: v_dual_fmac_f32 v106, v57, v22
	v_mul_f32_e32 v27, v50, v27
	v_mul_f32_e32 v111, v69, v21
	v_fma_f32 v3, v30, v40, -v97
	v_fma_f32 v40, v24, v46, -v99
	v_dual_fmac_f32 v100, v24, v47 :: v_dual_fmac_f32 v29, v61, v28
	v_fma_f32 v41, v48, v26, -v101
	v_mul_f32_e32 v23, v58, v23
	v_fma_f32 v46, v54, v20, -v103
	v_fma_f32 v47, v56, v22, -v105
	v_mul_f32_e32 v21, v68, v21
	v_fma_f32 v48, v60, v28, -v107
	v_fma_f32 v28, v42, v30, -v108
	v_fmac_f32_e32 v31, v43, v30
	v_fma_f32 v30, v64, v24, -v109
	v_fmac_f32_e32 v21, v69, v20
	v_fmac_f32_e32 v25, v65, v24
	v_fma_f32 v24, v50, v26, -v110
	v_add_f32_e32 v42, v96, v106
	v_fmac_f32_e32 v27, v51, v26
	v_fma_f32 v26, v68, v20, -v111
	v_fma_f32 v20, v58, v22, -v112
	v_dual_add_f32 v50, v40, v41 :: v_dual_fmac_f32 v23, v59, v22
	v_sub_f32_e32 v40, v41, v40
	v_add_f32_e32 v22, v2, v47
	v_dual_sub_f32 v2, v2, v47 :: v_dual_add_f32 v47, v3, v46
	v_dual_add_f32 v54, v48, v20 :: v_dual_sub_f32 v3, v3, v46
	v_sub_f32_e32 v20, v48, v20
	v_sub_f32_e32 v43, v96, v106
	v_add_f32_e32 v49, v98, v104
	v_dual_sub_f32 v46, v98, v104 :: v_dual_add_f32 v51, v100, v102
	v_sub_f32_e32 v41, v102, v100
	v_dual_add_f32 v55, v29, v23 :: v_dual_sub_f32 v56, v47, v22
	v_sub_f32_e32 v23, v29, v23
	v_add_f32_e32 v58, v40, v3
	v_sub_f32_e32 v60, v40, v3
	v_dual_sub_f32 v40, v2, v40 :: v_dual_add_f32 v29, v28, v26
	v_sub_f32_e32 v26, v28, v26
	v_add_f32_e32 v28, v30, v24
	v_sub_f32_e32 v24, v24, v30
	v_add_f32_e32 v48, v31, v21
	v_sub_f32_e32 v21, v31, v21
	v_dual_add_f32 v31, v25, v27 :: v_dual_sub_f32 v64, v3, v2
	v_add_f32_e32 v30, v49, v42
	v_dual_sub_f32 v57, v49, v42 :: v_dual_sub_f32 v42, v42, v51
	v_dual_sub_f32 v25, v27, v25 :: v_dual_sub_f32 v68, v29, v54
	v_add_f32_e32 v27, v47, v22
	v_dual_sub_f32 v47, v50, v47 :: v_dual_add_f32 v94, v24, v26
	v_sub_f32_e32 v49, v51, v49
	v_add_f32_e32 v59, v41, v46
	v_sub_f32_e32 v61, v41, v46
	v_sub_f32_e32 v97, v24, v26
	v_dual_sub_f32 v24, v20, v24 :: v_dual_add_f32 v3, v29, v54
	v_dual_sub_f32 v22, v22, v50 :: v_dual_sub_f32 v41, v43, v41
	v_sub_f32_e32 v26, v26, v20
	v_sub_f32_e32 v46, v46, v43
	v_dual_add_f32 v65, v48, v55 :: v_dual_add_f32 v96, v25, v21
	v_dual_sub_f32 v69, v48, v55 :: v_dual_sub_f32 v98, v25, v21
	v_dual_sub_f32 v54, v54, v28 :: v_dual_sub_f32 v55, v55, v31
	v_dual_sub_f32 v29, v28, v29 :: v_dual_add_f32 v30, v51, v30
	v_dual_sub_f32 v48, v31, v48 :: v_dual_sub_f32 v21, v21, v23
	v_dual_mul_f32 v42, 0x3f4a47b2, v42 :: v_dual_add_f32 v27, v50, v27
	s_delay_alu instid0(VALU_DEP_4)
	v_mul_f32_e32 v54, 0x3f4a47b2, v54
	v_dual_add_f32 v50, v58, v2 :: v_dual_add_f32 v43, v59, v43
	v_add_f32_e32 v20, v94, v20
	v_mul_f32_e32 v58, 0x3d64c772, v49
	v_dual_mul_f32 v59, 0xbf08b237, v60 :: v_dual_add_f32 v28, v28, v3
	v_dual_sub_f32 v25, v23, v25 :: v_dual_mul_f32 v22, 0x3f4a47b2, v22
	v_dual_mul_f32 v51, 0x3d64c772, v47 :: v_dual_mul_f32 v94, 0x3d64c772, v48
	v_mul_f32_e32 v60, 0xbf08b237, v61
	v_mul_f32_e32 v61, 0x3f5ff5aa, v64
	v_dual_mul_f32 v99, 0x3f5ff5aa, v46 :: v_dual_mul_f32 v100, 0x3f5ff5aa, v21
	v_add_f32_e32 v31, v31, v65
	v_dual_add_f32 v23, v96, v23 :: v_dual_mul_f32 v96, 0xbf08b237, v97
	v_dual_mul_f32 v55, 0x3f4a47b2, v55 :: v_dual_add_f32 v2, v27, v16
	v_dual_mul_f32 v65, 0x3d64c772, v29 :: v_dual_add_f32 v16, v28, v18
	v_mul_f32_e32 v97, 0xbf08b237, v98
	v_dual_mul_f32 v98, 0x3f5ff5aa, v26 :: v_dual_add_f32 v3, v30, v17
	v_fmamk_f32 v18, v29, 0x3d64c772, v54
	v_fmamk_f32 v47, v47, 0x3d64c772, v22
	;; [unrolled: 1-line block ×3, first 2 shown]
	v_fma_f32 v51, 0x3f3bfb3b, v56, -v51
	v_fma_f32 v58, 0x3f3bfb3b, v57, -v58
	;; [unrolled: 1-line block ×4, first 2 shown]
	v_dual_fmamk_f32 v56, v40, 0x3eae86e6, v59 :: v_dual_fmamk_f32 v57, v41, 0x3eae86e6, v60
	v_fma_f32 v59, 0x3f5ff5aa, v64, -v59
	v_fma_f32 v46, 0x3f5ff5aa, v46, -v60
	;; [unrolled: 1-line block ×4, first 2 shown]
	v_dual_add_f32 v17, v31, v19 :: v_dual_fmamk_f32 v60, v24, 0x3eae86e6, v96
	v_fmamk_f32 v19, v48, 0x3d64c772, v55
	v_fma_f32 v29, 0x3f3bfb3b, v68, -v65
	v_fma_f32 v48, 0x3f3bfb3b, v69, -v94
	;; [unrolled: 1-line block ×7, first 2 shown]
	v_dual_mul_f32 v69, v62, v13 :: v_dual_fmac_f32 v56, 0x3ee1c552, v50
	v_mul_f32_e32 v94, v44, v15
	v_fma_f32 v64, 0x3f5ff5aa, v21, -v97
	v_dual_mul_f32 v21, v63, v13 :: v_dual_fmamk_f32 v24, v30, 0xbf955555, v3
	v_dual_mul_f32 v13, v45, v15 :: v_dual_fmac_f32 v40, 0x3ee1c552, v50
	v_dual_mul_f32 v15, v67, v9 :: v_dual_fmac_f32 v46, 0x3ee1c552, v43
	v_dual_mul_f32 v96, v66, v9 :: v_dual_fmamk_f32 v61, v25, 0x3eae86e6, v97
	v_dual_mul_f32 v9, v53, v11 :: v_dual_fmac_f32 v60, 0x3ee1c552, v20
	v_dual_mul_f32 v97, v52, v11 :: v_dual_fmac_f32 v26, 0x3ee1c552, v20
	;; [unrolled: 1-line block ×3, first 2 shown]
	v_dual_mul_f32 v98, v70, v5 :: v_dual_mul_f32 v5, v33, v7
	v_fmamk_f32 v25, v28, 0xbf955555, v16
	v_mul_f32_e32 v99, v32, v7
	v_fmamk_f32 v7, v27, 0xbf955555, v2
	v_fmamk_f32 v27, v31, 0xbf955555, v17
	v_fma_f32 v31, v44, v14, -v13
	v_fmac_f32_e32 v94, v45, v14
	v_dual_fmac_f32 v59, 0x3ee1c552, v50 :: v_dual_fmac_f32 v68, 0x3ee1c552, v23
	v_add_f32_e32 v14, v47, v7
	v_fmac_f32_e32 v57, 0x3ee1c552, v43
	v_fma_f32 v30, v62, v12, -v21
	v_fma_f32 v44, v52, v10, -v9
	v_fma_f32 v45, v70, v4, -v11
	v_fmac_f32_e32 v98, v71, v4
	v_add_f32_e32 v11, v58, v24
	v_add_f32_e32 v13, v42, v24
	v_dual_add_f32 v42, v54, v25 :: v_dual_fmac_f32 v41, 0x3ee1c552, v43
	v_add_f32_e32 v4, v57, v14
	v_fma_f32 v43, v66, v8, -v15
	v_fmac_f32_e32 v97, v53, v10
	v_add_f32_e32 v15, v49, v24
	v_add_f32_e32 v24, v29, v25
	;; [unrolled: 1-line block ×3, first 2 shown]
	v_dual_fmac_f32 v69, v63, v12 :: v_dual_add_f32 v12, v22, v7
	v_fmac_f32_e32 v65, 0x3ee1c552, v20
	v_fmac_f32_e32 v96, v67, v8
	s_delay_alu instid0(VALU_DEP_4) | instskip(SKIP_4) | instid1(VALU_DEP_3)
	v_dual_sub_f32 v8, v10, v46 :: v_dual_fmac_f32 v61, 0x3ee1c552, v23
	v_fma_f32 v32, v32, v6, -v5
	v_dual_add_f32 v28, v18, v25 :: v_dual_fmac_f32 v99, v33, v6
	v_dual_sub_f32 v14, v14, v57 :: v_dual_add_f32 v29, v48, v27
	v_dual_add_f32 v6, v41, v12 :: v_dual_add_f32 v33, v19, v27
	v_add_f32_e32 v18, v61, v28
	v_dual_sub_f32 v7, v13, v40 :: v_dual_add_f32 v10, v46, v10
	v_sub_f32_e32 v12, v12, v41
	v_dual_add_f32 v13, v40, v13 :: v_dual_add_f32 v46, v43, v44
	v_add_f32_e32 v41, v31, v45
	v_sub_f32_e32 v31, v31, v45
	v_sub_f32_e32 v43, v44, v43
	v_dual_add_f32 v27, v55, v27 :: v_dual_sub_f32 v22, v24, v64
	v_dual_add_f32 v20, v68, v42 :: v_dual_sub_f32 v5, v15, v56
	;; [unrolled: 1-line block ×3, first 2 shown]
	s_delay_alu instid0(VALU_DEP_4)
	v_dual_sub_f32 v25, v29, v26 :: v_dual_add_f32 v52, v43, v31
	v_dual_sub_f32 v28, v28, v61 :: v_dual_add_f32 v9, v59, v11
	v_dual_add_f32 v24, v64, v24 :: v_dual_sub_f32 v11, v11, v59
	v_dual_add_f32 v40, v69, v99 :: v_dual_add_f32 v47, v96, v97
	v_sub_f32_e32 v19, v33, v60
	v_add_f32_e32 v23, v26, v29
	v_dual_sub_f32 v26, v42, v68 :: v_dual_add_f32 v29, v60, v33
	v_dual_sub_f32 v54, v43, v31 :: v_dual_add_f32 v33, v30, v32
	v_sub_f32_e32 v30, v30, v32
	v_sub_f32_e32 v32, v69, v99
	v_add_f32_e32 v42, v94, v98
	v_sub_f32_e32 v45, v94, v98
	v_sub_f32_e32 v21, v27, v65
	v_lshlrev_b64_e32 v[80:81], 3, v[80:81]
	s_delay_alu instid0(VALU_DEP_4)
	v_add_f32_e32 v49, v42, v40
	v_dual_sub_f32 v51, v42, v40 :: v_dual_sub_f32 v40, v40, v47
	v_dual_sub_f32 v42, v47, v42 :: v_dual_add_f32 v53, v44, v45
	v_sub_f32_e32 v55, v44, v45
	v_sub_f32_e32 v44, v32, v44
	ds_store_2addr_b64 v95, v[2:3], v[4:5] offset1:52
	ds_store_2addr_b64 v95, v[6:7], v[8:9] offset0:104 offset1:156
	ds_store_2addr_b64 v38, v[10:11], v[12:13] offset0:80 offset1:132
	;; [unrolled: 1-line block ×5, first 2 shown]
	v_add_f32_e32 v4, v52, v30
	v_mul_f32_e32 v10, 0xbf08b237, v54
	v_add_f32_e32 v48, v41, v33
	v_dual_sub_f32 v50, v41, v33 :: v_dual_sub_f32 v43, v30, v43
	v_add_f32_e32 v27, v65, v27
	s_delay_alu instid0(VALU_DEP_3) | instskip(NEXT) | instid1(VALU_DEP_3)
	v_dual_sub_f32 v33, v33, v46 :: v_dual_add_f32 v2, v46, v48
	v_dual_fmamk_f32 v16, v43, 0x3eae86e6, v10 :: v_dual_sub_f32 v41, v46, v41
	s_delay_alu instid0(VALU_DEP_2) | instskip(NEXT) | instid1(VALU_DEP_3)
	v_mul_f32_e32 v6, 0x3f4a47b2, v33
	v_dual_add_f32 v0, v2, v0 :: v_dual_sub_f32 v31, v31, v30
	s_delay_alu instid0(VALU_DEP_3) | instskip(NEXT) | instid1(VALU_DEP_4)
	v_fmac_f32_e32 v16, 0x3ee1c552, v4
	v_mul_f32_e32 v8, 0x3d64c772, v41
	s_delay_alu instid0(VALU_DEP_4) | instskip(NEXT) | instid1(VALU_DEP_4)
	v_fmamk_f32 v14, v41, 0x3d64c772, v6
	v_dual_fmamk_f32 v2, v2, 0xbf955555, v0 :: v_dual_sub_f32 v45, v45, v32
	v_mul_f32_e32 v12, 0x3f5ff5aa, v31
	s_delay_alu instid0(VALU_DEP_4) | instskip(NEXT) | instid1(VALU_DEP_3)
	v_fma_f32 v8, 0x3f3bfb3b, v50, -v8
	v_dual_add_f32 v3, v47, v49 :: v_dual_add_f32 v14, v14, v2
	v_fma_f32 v6, 0xbf3bfb3b, v50, -v6
	s_delay_alu instid0(VALU_DEP_3) | instskip(SKIP_2) | instid1(VALU_DEP_4)
	v_dual_add_f32 v5, v53, v32 :: v_dual_add_f32 v8, v8, v2
	v_mul_f32_e32 v13, 0x3f5ff5aa, v45
	v_fma_f32 v10, 0x3f5ff5aa, v31, -v10
	v_dual_add_f32 v18, v6, v2 :: v_dual_add_f32 v1, v3, v1
	s_delay_alu instid0(VALU_DEP_3) | instskip(NEXT) | instid1(VALU_DEP_3)
	v_fma_f32 v13, 0xbeae86e6, v44, -v13
	v_fmac_f32_e32 v10, 0x3ee1c552, v4
	v_fma_f32 v12, 0xbeae86e6, v43, -v12
	s_delay_alu instid0(VALU_DEP_3) | instskip(SKIP_1) | instid1(VALU_DEP_3)
	v_fmac_f32_e32 v13, 0x3ee1c552, v5
	v_mul_f32_e32 v11, 0xbf08b237, v55
	v_fmac_f32_e32 v12, 0x3ee1c552, v4
	s_delay_alu instid0(VALU_DEP_2) | instskip(SKIP_1) | instid1(VALU_DEP_2)
	v_dual_add_f32 v4, v13, v18 :: v_dual_fmamk_f32 v17, v44, 0x3eae86e6, v11
	v_fma_f32 v11, 0x3f5ff5aa, v45, -v11
	v_fmac_f32_e32 v17, 0x3ee1c552, v5
	v_mul_f32_e32 v7, 0x3f4a47b2, v40
	v_fmamk_f32 v3, v3, 0xbf955555, v1
	s_delay_alu instid0(VALU_DEP_4) | instskip(SKIP_1) | instid1(VALU_DEP_4)
	v_fmac_f32_e32 v11, 0x3ee1c552, v5
	v_mul_f32_e32 v9, 0x3d64c772, v42
	v_dual_add_f32 v2, v17, v14 :: v_dual_fmamk_f32 v15, v42, 0x3d64c772, v7
	v_fma_f32 v7, 0xbf3bfb3b, v51, -v7
	s_delay_alu instid0(VALU_DEP_4) | instskip(NEXT) | instid1(VALU_DEP_4)
	v_sub_f32_e32 v6, v8, v11
	v_fma_f32 v9, 0x3f3bfb3b, v51, -v9
	v_add_f32_e32 v8, v11, v8
	s_delay_alu instid0(VALU_DEP_4) | instskip(NEXT) | instid1(VALU_DEP_1)
	v_add_f32_e32 v19, v7, v3
	v_sub_f32_e32 v5, v19, v12
	v_dual_add_f32 v11, v12, v19 :: v_dual_sub_f32 v12, v14, v17
	v_add_f32_e32 v15, v15, v3
	v_add_f32_e32 v9, v9, v3
	s_delay_alu instid0(VALU_DEP_2) | instskip(NEXT) | instid1(VALU_DEP_2)
	v_sub_f32_e32 v3, v15, v16
	v_add_f32_e32 v7, v10, v9
	v_dual_sub_f32 v9, v9, v10 :: v_dual_sub_f32 v10, v18, v13
	v_add_f32_e32 v13, v16, v15
	ds_store_2addr_b64 v34, v[26:27], v[28:29] offset0:112 offset1:164
	ds_store_2addr_b64 v75, v[0:1], v[2:3] offset0:88 offset1:140
	;; [unrolled: 1-line block ×4, first 2 shown]
	ds_store_b64 v39, v[12:13] offset:8320
	v_add_co_u32 v12, s0, s8, v86
	s_wait_alu 0xf1ff
	v_add_co_ci_u32_e64 v13, s0, s9, v87, s0
	v_add_co_u32 v16, s0, s8, v84
	s_wait_alu 0xf1ff
	v_add_co_ci_u32_e64 v17, s0, s9, v85, s0
	;; [unrolled: 3-line block ×4, first 2 shown]
	global_wb scope:SCOPE_SE
	s_wait_dscnt 0x0
	s_barrier_signal -1
	s_barrier_wait -1
	global_inv scope:SCOPE_SE
	s_clause 0x6
	global_load_b128 v[0:3], v[92:93], off offset:2896
	global_load_b128 v[4:7], v[90:91], off offset:2896
	;; [unrolled: 1-line block ×7, first 2 shown]
	ds_load_2addr_b64 v[28:31], v35 offset0:56 offset1:108
	ds_load_2addr_b64 v[39:42], v37 offset0:88 offset1:140
	;; [unrolled: 1-line block ×3, first 2 shown]
	ds_load_2addr_b64 v[47:50], v95 offset1:52
	ds_load_2addr_b64 v[51:54], v95 offset0:104 offset1:156
	ds_load_2addr_b64 v[55:58], v36 offset0:64 offset1:116
	;; [unrolled: 1-line block ×6, first 2 shown]
	ds_load_b64 v[32:33], v95 offset:8320
	global_wb scope:SCOPE_SE
	s_wait_loadcnt_dscnt 0x0
	s_barrier_signal -1
	s_barrier_wait -1
	global_inv scope:SCOPE_SE
	v_mul_f32_e32 v78, v5, v44
	v_mul_f32_e32 v5, v5, v43
	v_dual_mul_f32 v86, v56, v11 :: v_dual_mul_f32 v91, v81, v21
	v_dual_mul_f32 v21, v80, v21 :: v_dual_mul_f32 v84, v7, v42
	s_delay_alu instid0(VALU_DEP_3) | instskip(SKIP_2) | instid1(VALU_DEP_4)
	v_fmac_f32_e32 v5, v4, v44
	v_mul_f32_e32 v85, v46, v9
	v_mul_f32_e32 v9, v45, v9
	v_fmac_f32_e32 v21, v81, v20
	v_mul_f32_e32 v11, v55, v11
	v_mul_f32_e32 v93, v83, v25
	;; [unrolled: 1-line block ×3, first 2 shown]
	v_fmac_f32_e32 v9, v46, v8
	v_mul_f32_e32 v89, v62, v17
	v_fmac_f32_e32 v11, v56, v10
	v_dual_mul_f32 v7, v7, v41 :: v_dual_mul_f32 v90, v68, v19
	v_fmac_f32_e32 v25, v83, v24
	v_mul_f32_e32 v19, v67, v19
	s_delay_alu instid0(VALU_DEP_3) | instskip(SKIP_2) | instid1(VALU_DEP_4)
	v_dual_sub_f32 v56, v9, v11 :: v_dual_fmac_f32 v7, v6, v42
	v_mul_f32_e32 v92, v70, v23
	v_mul_f32_e32 v23, v69, v23
	v_fmac_f32_e32 v19, v68, v18
	s_delay_alu instid0(VALU_DEP_4)
	v_dual_mul_f32 v75, v3, v40 :: v_dual_sub_f32 v42, v5, v7
	v_add_f32_e32 v44, v5, v7
	v_mul_f32_e32 v17, v61, v17
	v_mul_f32_e32 v3, v3, v39
	v_fmac_f32_e32 v23, v70, v22
	v_mul_f32_e32 v88, v58, v15
	s_delay_alu instid0(VALU_DEP_4) | instskip(SKIP_4) | instid1(VALU_DEP_3)
	v_dual_mul_f32 v94, v33, v27 :: v_dual_fmac_f32 v17, v62, v16
	v_mul_f32_e32 v87, v60, v13
	v_mul_f32_e32 v13, v59, v13
	v_fmac_f32_e32 v3, v2, v40
	v_sub_f32_e32 v81, v21, v23
	v_dual_sub_f32 v70, v17, v19 :: v_dual_fmac_f32 v13, v60, v12
	v_mul_f32_e32 v71, v1, v31
	s_delay_alu instid0(VALU_DEP_2) | instskip(NEXT) | instid1(VALU_DEP_2)
	v_dual_mul_f32 v1, v1, v30 :: v_dual_add_f32 v62, v54, v13
	v_fma_f32 v30, v0, v30, -v71
	s_delay_alu instid0(VALU_DEP_2)
	v_fmac_f32_e32 v1, v0, v31
	v_fma_f32 v0, v2, v39, -v75
	v_fma_f32 v2, v4, v43, -v78
	v_mul_f32_e32 v15, v57, v15
	v_fma_f32 v4, v6, v41, -v84
	v_fma_f32 v6, v45, v8, -v85
	;; [unrolled: 1-line block ×3, first 2 shown]
	v_add_f32_e32 v40, v49, v2
	v_fma_f32 v10, v59, v12, -v87
	v_fma_f32 v12, v57, v14, -v88
	v_fmac_f32_e32 v15, v58, v14
	v_add_f32_e32 v41, v2, v4
	v_sub_f32_e32 v45, v2, v4
	v_add_f32_e32 v4, v40, v4
	v_fma_f32 v14, v61, v16, -v89
	v_fma_f32 v16, v67, v18, -v90
	v_add_f32_e32 v46, v51, v6
	v_add_f32_e32 v59, v53, v10
	s_delay_alu instid0(VALU_DEP_4)
	v_dual_add_f32 v55, v6, v8 :: v_dual_add_f32 v68, v63, v14
	v_sub_f32_e32 v58, v6, v8
	v_add_f32_e32 v60, v10, v12
	v_sub_f32_e32 v67, v10, v12
	v_add_f32_e32 v6, v46, v8
	v_fma_f32 v18, v80, v20, -v91
	v_fma_f32 v20, v69, v22, -v92
	v_add_f32_e32 v10, v59, v12
	v_add_f32_e32 v12, v68, v16
	v_fma_f32 v22, v82, v24, -v93
	v_fma_f32 v24, v32, v26, -v94
	v_add_f32_e32 v78, v65, v18
	v_add_f32_e32 v80, v18, v20
	s_delay_alu instid0(VALU_DEP_4) | instskip(SKIP_3) | instid1(VALU_DEP_4)
	v_dual_sub_f32 v83, v18, v20 :: v_dual_add_f32 v18, v28, v22
	v_fma_f32 v8, -0.5, v55, v51
	v_dual_mul_f32 v27, v32, v27 :: v_dual_add_f32 v84, v22, v24
	v_sub_f32_e32 v87, v22, v24
	v_add_f32_e32 v18, v18, v24
	s_delay_alu instid0(VALU_DEP_4)
	v_fmamk_f32 v24, v56, 0x3f5db3d7, v8
	v_dual_fmac_f32 v8, 0xbf5db3d7, v56 :: v_dual_sub_f32 v61, v13, v15
	v_add_f32_e32 v13, v13, v15
	v_add_f32_e32 v69, v14, v16
	;; [unrolled: 1-line block ×3, first 2 shown]
	v_sub_f32_e32 v75, v14, v16
	v_dual_add_f32 v16, v78, v20 :: v_dual_fmac_f32 v27, v33, v26
	v_add_f32_e32 v86, v29, v25
	v_fmac_f32_e32 v54, -0.5, v13
	v_dual_add_f32 v26, v47, v30 :: v_dual_add_f32 v57, v52, v9
	v_dual_add_f32 v17, v17, v19 :: v_dual_add_f32 v82, v66, v21
	v_add_f32_e32 v21, v21, v23
	v_sub_f32_e32 v85, v25, v27
	v_add_f32_e32 v25, v25, v27
	v_fma_f32 v53, -0.5, v60, v53
	v_add_f32_e32 v31, v30, v0
	v_add_f32_e32 v13, v71, v19
	;; [unrolled: 1-line block ×3, first 2 shown]
	v_fmamk_f32 v27, v67, 0xbf5db3d7, v54
	v_dual_fmac_f32 v54, 0x3f5db3d7, v67 :: v_dual_add_f32 v43, v50, v5
	v_fmac_f32_e32 v50, -0.5, v44
	v_dual_sub_f32 v30, v30, v0 :: v_dual_add_f32 v9, v9, v11
	v_add_f32_e32 v0, v26, v0
	v_fmamk_f32 v26, v61, 0x3f5db3d7, v53
	v_fma_f32 v2, -0.5, v31, v47
	v_add_f32_e32 v5, v43, v7
	v_add_f32_e32 v7, v57, v11
	;; [unrolled: 1-line block ×3, first 2 shown]
	v_fma_f32 v15, -0.5, v17, v64
	v_fma_f32 v65, -0.5, v80, v65
	v_dual_add_f32 v17, v82, v23 :: v_dual_fmac_f32 v66, -0.5, v21
	v_fmamk_f32 v23, v45, 0xbf5db3d7, v50
	v_fmac_f32_e32 v50, 0x3f5db3d7, v45
	v_dual_sub_f32 v32, v1, v3 :: v_dual_fmac_f32 v29, -0.5, v25
	v_add_f32_e32 v39, v1, v3
	v_fma_f32 v9, -0.5, v9, v52
	v_fma_f32 v14, -0.5, v69, v63
	s_delay_alu instid0(VALU_DEP_4)
	v_fmamk_f32 v20, v32, 0x3f5db3d7, v2
	v_fmamk_f32 v40, v87, 0xbf5db3d7, v29
	v_fmac_f32_e32 v2, 0xbf5db3d7, v32
	v_fmamk_f32 v32, v81, 0x3f5db3d7, v65
	v_fma_f32 v49, -0.5, v41, v49
	v_add_f32_e32 v33, v48, v1
	v_fma_f32 v28, -0.5, v84, v28
	v_fmamk_f32 v25, v58, 0xbf5db3d7, v9
	v_fmac_f32_e32 v9, 0x3f5db3d7, v58
	s_delay_alu instid0(VALU_DEP_4)
	v_dual_fmamk_f32 v22, v42, 0x3f5db3d7, v49 :: v_dual_add_f32 v1, v33, v3
	v_fma_f32 v3, -0.5, v39, v48
	v_fmac_f32_e32 v49, 0xbf5db3d7, v42
	v_fmac_f32_e32 v53, 0xbf5db3d7, v61
	v_fmamk_f32 v31, v75, 0xbf5db3d7, v15
	v_fmac_f32_e32 v15, 0x3f5db3d7, v75
	v_fmamk_f32 v21, v30, 0xbf5db3d7, v3
	v_dual_fmac_f32 v3, 0x3f5db3d7, v30 :: v_dual_fmamk_f32 v30, v70, 0x3f5db3d7, v14
	v_dual_fmac_f32 v14, 0xbf5db3d7, v70 :: v_dual_fmac_f32 v65, 0xbf5db3d7, v81
	v_fmamk_f32 v33, v83, 0xbf5db3d7, v66
	v_fmac_f32_e32 v66, 0x3f5db3d7, v83
	v_fmamk_f32 v39, v85, 0x3f5db3d7, v28
	v_fmac_f32_e32 v28, 0xbf5db3d7, v85
	v_fmac_f32_e32 v29, 0x3f5db3d7, v87
	ds_store_2addr_b64 v95, v[0:1], v[4:5] offset1:52
	ds_store_2addr_b64 v95, v[6:7], v[10:11] offset0:104 offset1:156
	ds_store_2addr_b64 v38, v[12:13], v[16:17] offset0:80 offset1:132
	;; [unrolled: 1-line block ×9, first 2 shown]
	ds_store_b64 v95, v[28:29] offset:8320
	global_wb scope:SCOPE_SE
	s_wait_dscnt 0x0
	s_barrier_signal -1
	s_barrier_wait -1
	global_inv scope:SCOPE_SE
	s_and_saveexec_b32 s0, vcc_lo
	s_cbranch_execz .LBB0_33
; %bb.32:
	v_mul_lo_u32 v0, s3, v76
	v_mul_lo_u32 v1, s2, v77
	v_mad_co_u64_u32 v[4:5], null, s2, v76, 0
	v_dual_mov_b32 v75, v79 :: v_dual_add_nc_u32 v78, 52, v74
	v_lshlrev_b64_e32 v[8:9], 3, v[72:73]
	v_lshl_add_u32 v18, v74, 3, 0
	s_delay_alu instid0(VALU_DEP_3)
	v_lshlrev_b64_e32 v[12:13], 3, v[74:75]
	v_add3_u32 v5, v5, v1, v0
	v_lshlrev_b64_e32 v[14:15], 3, v[78:79]
	ds_load_2addr_b64 v[0:3], v18 offset1:52
	v_add_nc_u32_e32 v78, 0x68, v74
	v_add_nc_u32_e32 v19, 0x400, v18
	v_lshlrev_b64_e32 v[10:11], 3, v[4:5]
	ds_load_2addr_b64 v[4:7], v18 offset0:104 offset1:156
	v_add_co_u32 v16, vcc_lo, s6, v10
	s_wait_alu 0xfffd
	v_add_co_ci_u32_e32 v17, vcc_lo, s7, v11, vcc_lo
	v_lshlrev_b64_e32 v[10:11], 3, v[78:79]
	s_delay_alu instid0(VALU_DEP_3) | instskip(SKIP_1) | instid1(VALU_DEP_3)
	v_add_co_u32 v20, vcc_lo, v16, v8
	s_wait_alu 0xfffd
	v_add_co_ci_u32_e32 v21, vcc_lo, v17, v9, vcc_lo
	v_add_nc_u32_e32 v78, 0x9c, v74
	s_delay_alu instid0(VALU_DEP_3) | instskip(SKIP_1) | instid1(VALU_DEP_3)
	v_add_co_u32 v8, vcc_lo, v20, v12
	s_wait_alu 0xfffd
	v_add_co_ci_u32_e32 v9, vcc_lo, v21, v13, vcc_lo
	v_add_co_u32 v12, vcc_lo, v20, v14
	s_wait_alu 0xfffd
	v_add_co_ci_u32_e32 v13, vcc_lo, v21, v15, vcc_lo
	v_lshlrev_b64_e32 v[14:15], 3, v[78:79]
	v_add_co_u32 v10, vcc_lo, v20, v10
	v_add_nc_u32_e32 v78, 0xd0, v74
	s_wait_alu 0xfffd
	v_add_co_ci_u32_e32 v11, vcc_lo, v21, v11, vcc_lo
	s_delay_alu instid0(VALU_DEP_4)
	v_add_co_u32 v14, vcc_lo, v20, v14
	s_wait_alu 0xfffd
	v_add_co_ci_u32_e32 v15, vcc_lo, v21, v15, vcc_lo
	v_lshlrev_b64_e32 v[16:17], 3, v[78:79]
	v_add_nc_u32_e32 v78, 0x104, v74
	s_wait_dscnt 0x1
	s_clause 0x1
	global_store_b64 v[8:9], v[0:1], off
	global_store_b64 v[12:13], v[2:3], off
	s_wait_dscnt 0x0
	s_clause 0x1
	global_store_b64 v[10:11], v[4:5], off
	global_store_b64 v[14:15], v[6:7], off
	ds_load_2addr_b64 v[0:3], v19 offset0:80 offset1:132
	v_add_nc_u32_e32 v19, 0x800, v18
	v_lshlrev_b64_e32 v[8:9], 3, v[78:79]
	v_add_nc_u32_e32 v78, 0x138, v74
	v_add_co_u32 v10, vcc_lo, v20, v16
	ds_load_2addr_b64 v[4:7], v19 offset0:56 offset1:108
	s_wait_alu 0xfffd
	v_add_co_ci_u32_e32 v11, vcc_lo, v21, v17, vcc_lo
	v_lshlrev_b64_e32 v[12:13], 3, v[78:79]
	v_add_nc_u32_e32 v78, 0x16c, v74
	v_add_co_u32 v8, vcc_lo, v20, v8
	s_wait_alu 0xfffd
	v_add_co_ci_u32_e32 v9, vcc_lo, v21, v9, vcc_lo
	s_delay_alu instid0(VALU_DEP_3) | instskip(SKIP_4) | instid1(VALU_DEP_4)
	v_lshlrev_b64_e32 v[14:15], 3, v[78:79]
	v_add_co_u32 v12, vcc_lo, v20, v12
	v_add_nc_u32_e32 v78, 0x1a0, v74
	s_wait_alu 0xfffd
	v_add_co_ci_u32_e32 v13, vcc_lo, v21, v13, vcc_lo
	v_add_co_u32 v14, vcc_lo, v20, v14
	s_wait_alu 0xfffd
	v_add_co_ci_u32_e32 v15, vcc_lo, v21, v15, vcc_lo
	v_lshlrev_b64_e32 v[16:17], 3, v[78:79]
	v_add_nc_u32_e32 v78, 0x1d4, v74
	s_wait_dscnt 0x1
	s_clause 0x1
	global_store_b64 v[10:11], v[0:1], off
	global_store_b64 v[8:9], v[2:3], off
	s_wait_dscnt 0x0
	s_clause 0x1
	global_store_b64 v[12:13], v[4:5], off
	global_store_b64 v[14:15], v[6:7], off
	ds_load_2addr_b64 v[0:3], v19 offset0:160 offset1:212
	v_add_nc_u32_e32 v19, 0x1000, v18
	v_lshlrev_b64_e32 v[8:9], 3, v[78:79]
	v_add_nc_u32_e32 v78, 0x208, v74
	v_add_co_u32 v10, vcc_lo, v20, v16
	ds_load_2addr_b64 v[4:7], v19 offset0:8 offset1:60
	s_wait_alu 0xfffd
	v_add_co_ci_u32_e32 v11, vcc_lo, v21, v17, vcc_lo
	v_lshlrev_b64_e32 v[12:13], 3, v[78:79]
	v_add_nc_u32_e32 v78, 0x23c, v74
	v_add_co_u32 v8, vcc_lo, v20, v8
	s_wait_alu 0xfffd
	v_add_co_ci_u32_e32 v9, vcc_lo, v21, v9, vcc_lo
	s_delay_alu instid0(VALU_DEP_3) | instskip(SKIP_4) | instid1(VALU_DEP_4)
	v_lshlrev_b64_e32 v[14:15], 3, v[78:79]
	v_add_co_u32 v12, vcc_lo, v20, v12
	v_add_nc_u32_e32 v78, 0x270, v74
	s_wait_alu 0xfffd
	v_add_co_ci_u32_e32 v13, vcc_lo, v21, v13, vcc_lo
	v_add_co_u32 v14, vcc_lo, v20, v14
	s_wait_alu 0xfffd
	v_add_co_ci_u32_e32 v15, vcc_lo, v21, v15, vcc_lo
	v_lshlrev_b64_e32 v[16:17], 3, v[78:79]
	v_add_nc_u32_e32 v78, 0x2a4, v74
	s_wait_dscnt 0x1
	s_clause 0x1
	global_store_b64 v[10:11], v[0:1], off
	global_store_b64 v[8:9], v[2:3], off
	s_wait_dscnt 0x0
	s_clause 0x1
	global_store_b64 v[12:13], v[4:5], off
	global_store_b64 v[14:15], v[6:7], off
	v_add_nc_u32_e32 v4, 0x1400, v18
	ds_load_2addr_b64 v[0:3], v19 offset0:112 offset1:164
	v_add_nc_u32_e32 v19, 0x1800, v18
	v_lshlrev_b64_e32 v[8:9], 3, v[78:79]
	v_add_nc_u32_e32 v78, 0x2d8, v74
	ds_load_2addr_b64 v[4:7], v4 offset0:88 offset1:140
	v_add_co_u32 v10, vcc_lo, v20, v16
	s_wait_alu 0xfffd
	v_add_co_ci_u32_e32 v11, vcc_lo, v21, v17, vcc_lo
	v_lshlrev_b64_e32 v[12:13], 3, v[78:79]
	v_add_nc_u32_e32 v78, 0x30c, v74
	v_add_co_u32 v8, vcc_lo, v20, v8
	s_wait_alu 0xfffd
	v_add_co_ci_u32_e32 v9, vcc_lo, v21, v9, vcc_lo
	s_delay_alu instid0(VALU_DEP_3) | instskip(SKIP_4) | instid1(VALU_DEP_3)
	v_lshlrev_b64_e32 v[14:15], 3, v[78:79]
	v_add_nc_u32_e32 v78, 0x340, v74
	v_add_co_u32 v12, vcc_lo, v20, v12
	s_wait_alu 0xfffd
	v_add_co_ci_u32_e32 v13, vcc_lo, v21, v13, vcc_lo
	v_lshlrev_b64_e32 v[16:17], 3, v[78:79]
	v_add_nc_u32_e32 v78, 0x374, v74
	v_add_co_u32 v14, vcc_lo, v20, v14
	s_wait_alu 0xfffd
	v_add_co_ci_u32_e32 v15, vcc_lo, v21, v15, vcc_lo
	s_wait_dscnt 0x1
	s_clause 0x1
	global_store_b64 v[10:11], v[0:1], off
	global_store_b64 v[8:9], v[2:3], off
	s_wait_dscnt 0x0
	s_clause 0x1
	global_store_b64 v[12:13], v[4:5], off
	global_store_b64 v[14:15], v[6:7], off
	v_lshlrev_b64_e32 v[8:9], 3, v[78:79]
	v_add_nc_u32_e32 v78, 0x3a8, v74
	ds_load_2addr_b64 v[0:3], v19 offset0:64 offset1:116
	ds_load_2addr_b64 v[4:7], v19 offset0:168 offset1:220
	v_add_co_u32 v10, vcc_lo, v20, v16
	v_lshlrev_b64_e32 v[12:13], 3, v[78:79]
	v_add_nc_u32_e32 v78, 0x3dc, v74
	ds_load_b64 v[14:15], v18 offset:8320
	s_wait_alu 0xfffd
	v_add_co_ci_u32_e32 v11, vcc_lo, v21, v17, vcc_lo
	v_add_co_u32 v8, vcc_lo, v20, v8
	v_lshlrev_b64_e32 v[16:17], 3, v[78:79]
	v_add_nc_u32_e32 v78, 0x410, v74
	s_wait_alu 0xfffd
	v_add_co_ci_u32_e32 v9, vcc_lo, v21, v9, vcc_lo
	v_add_co_u32 v12, vcc_lo, v20, v12
	s_delay_alu instid0(VALU_DEP_3)
	v_lshlrev_b64_e32 v[18:19], 3, v[78:79]
	s_wait_alu 0xfffd
	v_add_co_ci_u32_e32 v13, vcc_lo, v21, v13, vcc_lo
	v_add_co_u32 v16, vcc_lo, v20, v16
	s_wait_alu 0xfffd
	v_add_co_ci_u32_e32 v17, vcc_lo, v21, v17, vcc_lo
	v_add_co_u32 v18, vcc_lo, v20, v18
	s_wait_alu 0xfffd
	v_add_co_ci_u32_e32 v19, vcc_lo, v21, v19, vcc_lo
	s_wait_dscnt 0x2
	s_clause 0x1
	global_store_b64 v[10:11], v[0:1], off
	global_store_b64 v[8:9], v[2:3], off
	s_wait_dscnt 0x1
	s_clause 0x1
	global_store_b64 v[12:13], v[4:5], off
	global_store_b64 v[16:17], v[6:7], off
	s_wait_dscnt 0x0
	global_store_b64 v[18:19], v[14:15], off
.LBB0_33:
	s_nop 0
	s_sendmsg sendmsg(MSG_DEALLOC_VGPRS)
	s_endpgm
	.section	.rodata,"a",@progbits
	.p2align	6, 0x0
	.amdhsa_kernel fft_rtc_fwd_len1092_factors_2_2_13_7_3_wgs_52_tpt_52_halfLds_sp_op_CI_CI_unitstride_sbrr_C2R_dirReg
		.amdhsa_group_segment_fixed_size 0
		.amdhsa_private_segment_fixed_size 0
		.amdhsa_kernarg_size 104
		.amdhsa_user_sgpr_count 2
		.amdhsa_user_sgpr_dispatch_ptr 0
		.amdhsa_user_sgpr_queue_ptr 0
		.amdhsa_user_sgpr_kernarg_segment_ptr 1
		.amdhsa_user_sgpr_dispatch_id 0
		.amdhsa_user_sgpr_private_segment_size 0
		.amdhsa_wavefront_size32 1
		.amdhsa_uses_dynamic_stack 0
		.amdhsa_enable_private_segment 0
		.amdhsa_system_sgpr_workgroup_id_x 1
		.amdhsa_system_sgpr_workgroup_id_y 0
		.amdhsa_system_sgpr_workgroup_id_z 0
		.amdhsa_system_sgpr_workgroup_info 0
		.amdhsa_system_vgpr_workitem_id 0
		.amdhsa_next_free_vgpr 214
		.amdhsa_next_free_sgpr 39
		.amdhsa_reserve_vcc 1
		.amdhsa_float_round_mode_32 0
		.amdhsa_float_round_mode_16_64 0
		.amdhsa_float_denorm_mode_32 3
		.amdhsa_float_denorm_mode_16_64 3
		.amdhsa_fp16_overflow 0
		.amdhsa_workgroup_processor_mode 1
		.amdhsa_memory_ordered 1
		.amdhsa_forward_progress 0
		.amdhsa_round_robin_scheduling 0
		.amdhsa_exception_fp_ieee_invalid_op 0
		.amdhsa_exception_fp_denorm_src 0
		.amdhsa_exception_fp_ieee_div_zero 0
		.amdhsa_exception_fp_ieee_overflow 0
		.amdhsa_exception_fp_ieee_underflow 0
		.amdhsa_exception_fp_ieee_inexact 0
		.amdhsa_exception_int_div_zero 0
	.end_amdhsa_kernel
	.text
.Lfunc_end0:
	.size	fft_rtc_fwd_len1092_factors_2_2_13_7_3_wgs_52_tpt_52_halfLds_sp_op_CI_CI_unitstride_sbrr_C2R_dirReg, .Lfunc_end0-fft_rtc_fwd_len1092_factors_2_2_13_7_3_wgs_52_tpt_52_halfLds_sp_op_CI_CI_unitstride_sbrr_C2R_dirReg
                                        ; -- End function
	.section	.AMDGPU.csdata,"",@progbits
; Kernel info:
; codeLenInByte = 17260
; NumSgprs: 41
; NumVgprs: 214
; ScratchSize: 0
; MemoryBound: 0
; FloatMode: 240
; IeeeMode: 1
; LDSByteSize: 0 bytes/workgroup (compile time only)
; SGPRBlocks: 5
; VGPRBlocks: 26
; NumSGPRsForWavesPerEU: 41
; NumVGPRsForWavesPerEU: 214
; Occupancy: 7
; WaveLimiterHint : 1
; COMPUTE_PGM_RSRC2:SCRATCH_EN: 0
; COMPUTE_PGM_RSRC2:USER_SGPR: 2
; COMPUTE_PGM_RSRC2:TRAP_HANDLER: 0
; COMPUTE_PGM_RSRC2:TGID_X_EN: 1
; COMPUTE_PGM_RSRC2:TGID_Y_EN: 0
; COMPUTE_PGM_RSRC2:TGID_Z_EN: 0
; COMPUTE_PGM_RSRC2:TIDIG_COMP_CNT: 0
	.text
	.p2alignl 7, 3214868480
	.fill 96, 4, 3214868480
	.type	__hip_cuid_52b51882d6ae0206,@object ; @__hip_cuid_52b51882d6ae0206
	.section	.bss,"aw",@nobits
	.globl	__hip_cuid_52b51882d6ae0206
__hip_cuid_52b51882d6ae0206:
	.byte	0                               ; 0x0
	.size	__hip_cuid_52b51882d6ae0206, 1

	.ident	"AMD clang version 19.0.0git (https://github.com/RadeonOpenCompute/llvm-project roc-6.4.0 25133 c7fe45cf4b819c5991fe208aaa96edf142730f1d)"
	.section	".note.GNU-stack","",@progbits
	.addrsig
	.addrsig_sym __hip_cuid_52b51882d6ae0206
	.amdgpu_metadata
---
amdhsa.kernels:
  - .args:
      - .actual_access:  read_only
        .address_space:  global
        .offset:         0
        .size:           8
        .value_kind:     global_buffer
      - .offset:         8
        .size:           8
        .value_kind:     by_value
      - .actual_access:  read_only
        .address_space:  global
        .offset:         16
        .size:           8
        .value_kind:     global_buffer
      - .actual_access:  read_only
        .address_space:  global
        .offset:         24
        .size:           8
        .value_kind:     global_buffer
      - .actual_access:  read_only
        .address_space:  global
        .offset:         32
        .size:           8
        .value_kind:     global_buffer
      - .offset:         40
        .size:           8
        .value_kind:     by_value
      - .actual_access:  read_only
        .address_space:  global
        .offset:         48
        .size:           8
        .value_kind:     global_buffer
      - .actual_access:  read_only
        .address_space:  global
        .offset:         56
        .size:           8
        .value_kind:     global_buffer
      - .offset:         64
        .size:           4
        .value_kind:     by_value
      - .actual_access:  read_only
        .address_space:  global
        .offset:         72
        .size:           8
        .value_kind:     global_buffer
      - .actual_access:  read_only
        .address_space:  global
        .offset:         80
        .size:           8
        .value_kind:     global_buffer
      - .actual_access:  read_only
        .address_space:  global
        .offset:         88
        .size:           8
        .value_kind:     global_buffer
      - .actual_access:  write_only
        .address_space:  global
        .offset:         96
        .size:           8
        .value_kind:     global_buffer
    .group_segment_fixed_size: 0
    .kernarg_segment_align: 8
    .kernarg_segment_size: 104
    .language:       OpenCL C
    .language_version:
      - 2
      - 0
    .max_flat_workgroup_size: 52
    .name:           fft_rtc_fwd_len1092_factors_2_2_13_7_3_wgs_52_tpt_52_halfLds_sp_op_CI_CI_unitstride_sbrr_C2R_dirReg
    .private_segment_fixed_size: 0
    .sgpr_count:     41
    .sgpr_spill_count: 0
    .symbol:         fft_rtc_fwd_len1092_factors_2_2_13_7_3_wgs_52_tpt_52_halfLds_sp_op_CI_CI_unitstride_sbrr_C2R_dirReg.kd
    .uniform_work_group_size: 1
    .uses_dynamic_stack: false
    .vgpr_count:     214
    .vgpr_spill_count: 0
    .wavefront_size: 32
    .workgroup_processor_mode: 1
amdhsa.target:   amdgcn-amd-amdhsa--gfx1201
amdhsa.version:
  - 1
  - 2
...

	.end_amdgpu_metadata
